;; amdgpu-corpus repo=ggml-org/llama.cpp kind=compiled arch=gfx1250 opt=O3
	.amdgcn_target "amdgcn-amd-amdhsa--gfx1250"
	.amdhsa_code_object_version 6
	.section	.text._ZL22cross_entropy_loss_f32ILb1EEvPKfS1_Pfii,"axG",@progbits,_ZL22cross_entropy_loss_f32ILb1EEvPKfS1_Pfii,comdat
	.globl	_ZL22cross_entropy_loss_f32ILb1EEvPKfS1_Pfii ; -- Begin function _ZL22cross_entropy_loss_f32ILb1EEvPKfS1_Pfii
	.p2align	8
	.type	_ZL22cross_entropy_loss_f32ILb1EEvPKfS1_Pfii,@function
_ZL22cross_entropy_loss_f32ILb1EEvPKfS1_Pfii: ; @_ZL22cross_entropy_loss_f32ILb1EEvPKfS1_Pfii
; %bb.0:
	s_load_b64 s[2:3], s[0:1], 0x18
	s_bfe_u32 s4, ttmp6, 0x4000c
	s_and_b32 s5, ttmp6, 15
	s_add_co_i32 s4, s4, 1
	s_getreg_b32 s6, hwreg(HW_REG_IB_STS2, 6, 4)
	s_mul_i32 s4, ttmp9, s4
	v_dual_mov_b32 v3, 0xff800000 :: v_dual_lshlrev_b32 v2, 2, v0
	s_add_co_i32 s5, s5, s4
	s_cmp_eq_u32 s6, 0
	s_mov_b32 s9, 0
	s_cselect_b32 s8, ttmp9, s5
	s_wait_kmcnt 0x0
	v_cmp_gt_i32_e32 vcc_lo, s2, v0
	s_ashr_i32 s11, s2, 31
	s_mov_b32 s10, s2
	s_delay_alu instid0(SALU_CYCLE_1)
	s_mul_u64 s[12:13], s[10:11], s[8:9]
	s_and_saveexec_b32 s4, vcc_lo
	s_cbranch_execz .LBB0_4
; %bb.1:
	s_load_b64 s[6:7], s[0:1], 0x0
	v_dual_mov_b32 v3, 0 :: v_dual_add_nc_u32 v1, 0, v2
	s_lshl_b64 s[14:15], s[12:13], 2
	s_mov_b32 s5, s9
	v_mov_b32_e32 v6, v0
	s_wait_kmcnt 0x0
	s_add_nc_u64 s[6:7], s[6:7], s[14:15]
	s_delay_alu instid0(SALU_CYCLE_1)
	v_add_nc_u64_e32 v[4:5], s[6:7], v[2:3]
	v_mov_b32_e32 v3, 0xff800000
.LBB0_2:                                ; =>This Inner Loop Header: Depth=1
	global_load_b32 v7, v[4:5], off
	v_dual_max_num_f32 v3, v3, v3 :: v_dual_add_nc_u32 v6, 32, v6
	s_wait_xcnt 0x0
	v_add_nc_u64_e32 v[4:5], 0x80, v[4:5]
	s_delay_alu instid0(VALU_DEP_2)
	v_cmp_le_i32_e64 s2, s10, v6
	s_or_b32 s5, s2, s5
	s_wait_loadcnt 0x0
	v_max_num_f32_e32 v8, v7, v7
	ds_store_b32 v1, v7
	v_add_nc_u32_e32 v1, 0x80, v1
	v_max_num_f32_e32 v3, v3, v8
	s_and_not1_b32 exec_lo, exec_lo, s5
	s_cbranch_execnz .LBB0_2
; %bb.3:
	s_or_b32 exec_lo, exec_lo, s5
.LBB0_4:
	s_delay_alu instid0(SALU_CYCLE_1) | instskip(SKIP_3) | instid1(VALU_DEP_1)
	s_or_b32 exec_lo, exec_lo, s4
	v_mbcnt_lo_u32_b32 v4, -1, 0
	s_load_b128 s[4:7], s[0:1], 0x8
	s_mov_b32 s2, 0
	v_xor_b32_e32 v1, 16, v4
	v_xor_b32_e32 v9, 1, v4
	;; [unrolled: 1-line block ×4, first 2 shown]
	s_wait_xcnt 0x0
	v_cmp_gt_i32_e64 s0, 32, v1
	s_delay_alu instid0(VALU_DEP_1) | instskip(SKIP_1) | instid1(VALU_DEP_1)
	v_cndmask_b32_e64 v1, v4, v1, s0
	v_cmp_gt_i32_e64 s0, 32, v6
	v_dual_lshlrev_b32 v1, 2, v1 :: v_dual_cndmask_b32 v6, v4, v6, s0
	v_cmp_gt_i32_e64 s0, 32, v7
	ds_bpermute_b32 v5, v1, v3
	v_dual_max_num_f32 v3, v3, v3 :: v_dual_lshlrev_b32 v6, 2, v6
	s_wait_dscnt 0x0
	v_max_num_f32_e32 v5, v5, v5
	s_delay_alu instid0(VALU_DEP_1) | instskip(SKIP_3) | instid1(VALU_DEP_1)
	v_max_num_f32_e32 v3, v3, v5
	ds_bpermute_b32 v5, v6, v3
	s_wait_dscnt 0x0
	v_dual_cndmask_b32 v7, v4, v7, s0 :: v_dual_max_num_f32 v5, v5, v5
	v_dual_lshlrev_b32 v7, 2, v7 :: v_dual_max_num_f32 v3, v3, v5
	ds_bpermute_b32 v5, v7, v3
	s_wait_dscnt 0x0
	v_dual_max_num_f32 v5, v5, v5 :: v_dual_bitop2_b32 v8, 2, v4 bitop3:0x14
	s_delay_alu instid0(VALU_DEP_1) | instskip(NEXT) | instid1(VALU_DEP_1)
	v_cmp_gt_i32_e64 s0, 32, v8
	v_dual_max_num_f32 v3, v3, v5 :: v_dual_cndmask_b32 v8, v4, v8, s0
	v_cmp_gt_i32_e64 s0, 32, v9
	s_delay_alu instid0(VALU_DEP_1) | instskip(SKIP_3) | instid1(VALU_DEP_1)
	v_dual_lshlrev_b32 v8, 2, v8 :: v_dual_cndmask_b32 v4, v4, v9, s0
	ds_bpermute_b32 v5, v8, v3
	s_wait_dscnt 0x0
	v_dual_max_num_f32 v5, v5, v5 :: v_dual_lshlrev_b32 v9, 2, v4
	v_max_num_f32_e32 v3, v3, v5
	ds_bpermute_b32 v4, v9, v3
	s_wait_dscnt 0x0
	v_max_num_f32_e32 v4, v4, v4
	s_delay_alu instid0(VALU_DEP_1)
	v_dual_max_num_f32 v10, v3, v4 :: v_dual_mov_b32 v3, 0
	s_and_saveexec_b32 s1, vcc_lo
	s_cbranch_execz .LBB0_8
; %bb.5:
	v_lshl_add_u32 v4, v0, 2, 0
	v_dual_mov_b32 v3, 0 :: v_dual_mov_b32 v5, v0
.LBB0_6:                                ; =>This Inner Loop Header: Depth=1
	ds_load_b32 v11, v4
	v_add_nc_u32_e32 v4, 0x80, v4
	s_wait_dscnt 0x0
	v_dual_add_nc_u32 v5, 32, v5 :: v_dual_sub_f32 v11, v11, v10
	s_delay_alu instid0(VALU_DEP_1) | instskip(NEXT) | instid1(VALU_DEP_1)
	v_mul_f32_e32 v12, 0x3fb8aa3b, v11
	v_fma_f32 v13, 0x3fb8aa3b, v11, -v12
	v_rndne_f32_e32 v14, v12
	s_delay_alu instid0(VALU_DEP_1) | instskip(NEXT) | instid1(VALU_DEP_1)
	v_dual_fmac_f32 v13, 0x32a5705f, v11 :: v_dual_sub_f32 v12, v12, v14
	v_add_f32_e32 v12, v12, v13
	v_cvt_i32_f32_e32 v13, v14
	v_cmp_ngt_f32_e64 s0, 0xc2ce8ed0, v11
	s_delay_alu instid0(VALU_DEP_3) | instskip(SKIP_1) | instid1(TRANS32_DEP_1)
	v_exp_f32_e32 v12, v12
	v_nop
	v_ldexp_f32 v12, v12, v13
	s_delay_alu instid0(VALU_DEP_1) | instskip(SKIP_1) | instid1(VALU_DEP_1)
	v_cndmask_b32_e64 v12, 0, v12, s0
	v_cmp_nlt_f32_e64 s0, 0x42b17218, v11
	v_cndmask_b32_e64 v11, 0x7f800000, v12, s0
	v_cmp_le_i32_e64 s0, s10, v5
	s_delay_alu instid0(VALU_DEP_2) | instskip(SKIP_1) | instid1(SALU_CYCLE_1)
	v_add_f32_e32 v3, v3, v11
	s_or_b32 s2, s0, s2
	s_and_not1_b32 exec_lo, exec_lo, s2
	s_cbranch_execnz .LBB0_6
; %bb.7:
	s_or_b32 exec_lo, exec_lo, s2
.LBB0_8:
	s_delay_alu instid0(SALU_CYCLE_1)
	s_or_b32 exec_lo, exec_lo, s1
	ds_bpermute_b32 v4, v1, v3
	s_wait_dscnt 0x0
	v_add_f32_e32 v3, v3, v4
	ds_bpermute_b32 v4, v6, v3
	s_wait_dscnt 0x0
	v_add_f32_e32 v3, v3, v4
	;; [unrolled: 3-line block ×3, first 2 shown]
	ds_bpermute_b32 v4, v8, v3
	s_wait_dscnt 0x0
	v_dual_add_f32 v4, v3, v4 :: v_dual_mov_b32 v3, 0
	ds_bpermute_b32 v5, v9, v4
	s_and_saveexec_b32 s0, vcc_lo
	s_cbranch_execz .LBB0_12
; %bb.9:
	s_wait_dscnt 0x0
	v_add_f32_e32 v3, v4, v5
	s_lshl_b64 s[12:13], s[12:13], 2
	s_mov_b32 s1, 0
	s_wait_kmcnt 0x0
	s_add_nc_u64 s[4:5], s[4:5], s[12:13]
	v_add_nc_u32_e32 v11, 0, v2
	v_cmp_gt_f32_e32 vcc_lo, 0x800000, v3
	v_cndmask_b32_e64 v4, 0, 32, vcc_lo
	v_cndmask_b32_e64 v12, 0, 0x41b17218, vcc_lo
	s_delay_alu instid0(VALU_DEP_2) | instskip(NEXT) | instid1(VALU_DEP_1)
	v_ldexp_f32 v3, v3, v4
	v_log_f32_e32 v4, v3
	v_nop
	s_delay_alu instid0(TRANS32_DEP_1) | instskip(SKIP_1) | instid1(VALU_DEP_2)
	v_mul_f32_e32 v3, 0x3f317217, v4
	v_cmp_gt_f32_e64 vcc_lo, 0x7f800000, |v4|
	v_fma_f32 v3, 0x3f317217, v4, -v3
	s_delay_alu instid0(VALU_DEP_1) | instskip(SKIP_1) | instid1(VALU_DEP_2)
	v_fmamk_f32 v5, v4, 0x3377d1cf, v3
	v_mov_b32_e32 v3, 0
	v_fmac_f32_e32 v5, 0x3f317217, v4
	s_delay_alu instid0(VALU_DEP_1) | instskip(NEXT) | instid1(VALU_DEP_3)
	v_cndmask_b32_e32 v13, v4, v5, vcc_lo
	v_add_nc_u64_e32 v[4:5], s[4:5], v[2:3]
	s_delay_alu instid0(VALU_DEP_2)
	v_dual_sub_f32 v2, v13, v12 :: v_dual_mov_b32 v12, v0
.LBB0_10:                               ; =>This Inner Loop Header: Depth=1
	global_load_b32 v13, v[4:5], off
	ds_load_b32 v14, v11
	s_wait_xcnt 0x0
	v_add_nc_u64_e32 v[4:5], 0x80, v[4:5]
	v_add_nc_u32_e32 v12, 32, v12
	v_add_nc_u32_e32 v11, 0x80, v11
	s_delay_alu instid0(VALU_DEP_2) | instskip(SKIP_3) | instid1(VALU_DEP_1)
	v_cmp_le_i32_e32 vcc_lo, s10, v12
	s_or_b32 s1, vcc_lo, s1
	s_wait_dscnt 0x0
	v_sub_f32_e32 v14, v14, v10
	v_sub_f32_e32 v14, v14, v2
	s_wait_loadcnt 0x0
	s_delay_alu instid0(VALU_DEP_1)
	v_fmac_f32_e32 v3, v13, v14
	s_and_not1_b32 exec_lo, exec_lo, s1
	s_cbranch_execnz .LBB0_10
; %bb.11:
	s_or_b32 exec_lo, exec_lo, s1
.LBB0_12:
	s_delay_alu instid0(SALU_CYCLE_1)
	s_or_b32 exec_lo, exec_lo, s0
	ds_bpermute_b32 v1, v1, v3
	s_mov_b32 s0, exec_lo
	s_wait_dscnt 0x0
	v_add_f32_e32 v1, v3, v1
	ds_bpermute_b32 v2, v6, v1
	s_wait_dscnt 0x0
	v_add_f32_e32 v1, v1, v2
	ds_bpermute_b32 v2, v7, v1
	;; [unrolled: 3-line block ×4, first 2 shown]
	v_cmpx_eq_u32_e32 0, v0
	s_cbranch_execz .LBB0_14
; %bb.13:
	s_wait_dscnt 0x0
	v_add_f32_e32 v0, v1, v2
	s_cvt_f32_i32 s0, s3
	s_delay_alu instid0(VALU_DEP_1) | instid1(SALU_CYCLE_3)
	v_div_scale_f32 v1, null, s0, s0, -v0
	s_delay_alu instid0(VALU_DEP_1) | instskip(SKIP_1) | instid1(TRANS32_DEP_1)
	v_rcp_f32_e32 v2, v1
	v_nop
	v_fma_f32 v3, -v1, v2, 1.0
	s_delay_alu instid0(VALU_DEP_1) | instskip(SKIP_1) | instid1(VALU_DEP_1)
	v_fmac_f32_e32 v2, v3, v2
	v_div_scale_f32 v4, vcc_lo, -v0, s0, -v0
	v_mul_f32_e32 v3, v4, v2
	s_delay_alu instid0(VALU_DEP_1) | instskip(NEXT) | instid1(VALU_DEP_1)
	v_fma_f32 v5, -v1, v3, v4
	v_fmac_f32_e32 v3, v5, v2
	s_delay_alu instid0(VALU_DEP_1) | instskip(NEXT) | instid1(VALU_DEP_1)
	v_fma_f32 v1, -v1, v3, v4
	v_div_fmas_f32 v1, v1, v2, v3
	s_delay_alu instid0(VALU_DEP_1)
	v_div_fixup_f32 v0, v1, s0, -v0
	v_mov_b32_e32 v1, 0
	s_lshl_b64 s[0:1], s[8:9], 2
	s_wait_kmcnt 0x0
	s_add_nc_u64 s[0:1], s[6:7], s[0:1]
	global_store_b32 v1, v0, s[0:1]
.LBB0_14:
	s_endpgm
	.section	.rodata,"a",@progbits
	.p2align	6, 0x0
	.amdhsa_kernel _ZL22cross_entropy_loss_f32ILb1EEvPKfS1_Pfii
		.amdhsa_group_segment_fixed_size 0
		.amdhsa_private_segment_fixed_size 0
		.amdhsa_kernarg_size 32
		.amdhsa_user_sgpr_count 2
		.amdhsa_user_sgpr_dispatch_ptr 0
		.amdhsa_user_sgpr_queue_ptr 0
		.amdhsa_user_sgpr_kernarg_segment_ptr 1
		.amdhsa_user_sgpr_dispatch_id 0
		.amdhsa_user_sgpr_kernarg_preload_length 0
		.amdhsa_user_sgpr_kernarg_preload_offset 0
		.amdhsa_user_sgpr_private_segment_size 0
		.amdhsa_wavefront_size32 1
		.amdhsa_uses_dynamic_stack 0
		.amdhsa_enable_private_segment 0
		.amdhsa_system_sgpr_workgroup_id_x 1
		.amdhsa_system_sgpr_workgroup_id_y 0
		.amdhsa_system_sgpr_workgroup_id_z 0
		.amdhsa_system_sgpr_workgroup_info 0
		.amdhsa_system_vgpr_workitem_id 0
		.amdhsa_next_free_vgpr 15
		.amdhsa_next_free_sgpr 16
		.amdhsa_named_barrier_count 0
		.amdhsa_reserve_vcc 1
		.amdhsa_float_round_mode_32 0
		.amdhsa_float_round_mode_16_64 0
		.amdhsa_float_denorm_mode_32 3
		.amdhsa_float_denorm_mode_16_64 3
		.amdhsa_fp16_overflow 0
		.amdhsa_memory_ordered 1
		.amdhsa_forward_progress 1
		.amdhsa_inst_pref_size 11
		.amdhsa_round_robin_scheduling 0
		.amdhsa_exception_fp_ieee_invalid_op 0
		.amdhsa_exception_fp_denorm_src 0
		.amdhsa_exception_fp_ieee_div_zero 0
		.amdhsa_exception_fp_ieee_overflow 0
		.amdhsa_exception_fp_ieee_underflow 0
		.amdhsa_exception_fp_ieee_inexact 0
		.amdhsa_exception_int_div_zero 0
	.end_amdhsa_kernel
	.section	.text._ZL22cross_entropy_loss_f32ILb1EEvPKfS1_Pfii,"axG",@progbits,_ZL22cross_entropy_loss_f32ILb1EEvPKfS1_Pfii,comdat
.Lfunc_end0:
	.size	_ZL22cross_entropy_loss_f32ILb1EEvPKfS1_Pfii, .Lfunc_end0-_ZL22cross_entropy_loss_f32ILb1EEvPKfS1_Pfii
                                        ; -- End function
	.set _ZL22cross_entropy_loss_f32ILb1EEvPKfS1_Pfii.num_vgpr, 15
	.set _ZL22cross_entropy_loss_f32ILb1EEvPKfS1_Pfii.num_agpr, 0
	.set _ZL22cross_entropy_loss_f32ILb1EEvPKfS1_Pfii.numbered_sgpr, 16
	.set _ZL22cross_entropy_loss_f32ILb1EEvPKfS1_Pfii.num_named_barrier, 0
	.set _ZL22cross_entropy_loss_f32ILb1EEvPKfS1_Pfii.private_seg_size, 0
	.set _ZL22cross_entropy_loss_f32ILb1EEvPKfS1_Pfii.uses_vcc, 1
	.set _ZL22cross_entropy_loss_f32ILb1EEvPKfS1_Pfii.uses_flat_scratch, 0
	.set _ZL22cross_entropy_loss_f32ILb1EEvPKfS1_Pfii.has_dyn_sized_stack, 0
	.set _ZL22cross_entropy_loss_f32ILb1EEvPKfS1_Pfii.has_recursion, 0
	.set _ZL22cross_entropy_loss_f32ILb1EEvPKfS1_Pfii.has_indirect_call, 0
	.section	.AMDGPU.csdata,"",@progbits
; Kernel info:
; codeLenInByte = 1324
; TotalNumSgprs: 18
; NumVgprs: 15
; ScratchSize: 0
; MemoryBound: 0
; FloatMode: 240
; IeeeMode: 1
; LDSByteSize: 0 bytes/workgroup (compile time only)
; SGPRBlocks: 0
; VGPRBlocks: 0
; NumSGPRsForWavesPerEU: 18
; NumVGPRsForWavesPerEU: 15
; NamedBarCnt: 0
; Occupancy: 16
; WaveLimiterHint : 0
; COMPUTE_PGM_RSRC2:SCRATCH_EN: 0
; COMPUTE_PGM_RSRC2:USER_SGPR: 2
; COMPUTE_PGM_RSRC2:TRAP_HANDLER: 0
; COMPUTE_PGM_RSRC2:TGID_X_EN: 1
; COMPUTE_PGM_RSRC2:TGID_Y_EN: 0
; COMPUTE_PGM_RSRC2:TGID_Z_EN: 0
; COMPUTE_PGM_RSRC2:TIDIG_COMP_CNT: 0
	.section	.text._ZL22cross_entropy_loss_f32ILb0EEvPKfS1_Pfii,"axG",@progbits,_ZL22cross_entropy_loss_f32ILb0EEvPKfS1_Pfii,comdat
	.globl	_ZL22cross_entropy_loss_f32ILb0EEvPKfS1_Pfii ; -- Begin function _ZL22cross_entropy_loss_f32ILb0EEvPKfS1_Pfii
	.p2align	8
	.type	_ZL22cross_entropy_loss_f32ILb0EEvPKfS1_Pfii,@function
_ZL22cross_entropy_loss_f32ILb0EEvPKfS1_Pfii: ; @_ZL22cross_entropy_loss_f32ILb0EEvPKfS1_Pfii
; %bb.0:
	s_clause 0x1
	s_load_b64 s[10:11], s[0:1], 0x18
	s_load_b64 s[12:13], s[0:1], 0x0
	s_bfe_u32 s2, ttmp6, 0x4000c
	s_and_b32 s3, ttmp6, 15
	s_add_co_i32 s2, s2, 1
	s_getreg_b32 s4, hwreg(HW_REG_IB_STS2, 6, 4)
	s_mul_i32 s2, ttmp9, s2
	v_mov_b32_e32 v6, 0xff800000
	s_add_co_i32 s3, s3, s2
	s_cmp_eq_u32 s4, 0
	s_mov_b32 s9, 0
	s_cselect_b32 s8, ttmp9, s3
	s_wait_kmcnt 0x0
	v_cmp_gt_i32_e32 vcc_lo, s10, v0
	s_ashr_i32 s3, s10, 31
	s_mov_b32 s2, s10
	s_delay_alu instid0(SALU_CYCLE_1)
	s_mul_u64 s[14:15], s[2:3], s[8:9]
	s_and_saveexec_b32 s5, vcc_lo
	s_cbranch_execz .LBB1_10
; %bb.1:
	v_xad_u32 v1, v0, -1, s10
	v_mov_b32_e32 v6, 0xff800000
	v_mov_b32_e32 v2, v0
	s_mov_b32 s4, -1
	s_mov_b32 s16, exec_lo
	v_cmpx_lt_u32_e32 31, v1
	s_cbranch_execz .LBB1_5
; %bb.2:
	v_dual_lshrrev_b32 v2, 5, v1 :: v_dual_add_nc_u32 v1, 32, v0
	v_dual_mov_b32 v8, 0xff800000 :: v_dual_mov_b32 v9, 0xff800000
	s_lshl_b64 s[2:3], s[14:15], 2
	s_delay_alu instid0(VALU_DEP_2) | instskip(NEXT) | instid1(VALU_DEP_3)
	v_dual_mov_b32 v3, 0 :: v_dual_add_nc_u32 v6, 1, v2
	v_mov_b64_e32 v[4:5], v[0:1]
	s_mov_b32 s18, 2
	s_add_nc_u64 s[6:7], s[12:13], s[2:3]
	s_delay_alu instid0(VALU_DEP_2)
	v_and_b32_e32 v1, 0xffffffe, v6
	s_mov_b32 s19, 0
                                        ; implicit-def: $sgpr17
.LBB1_3:                                ; =>This Inner Loop Header: Depth=1
	s_delay_alu instid0(VALU_DEP_2) | instskip(NEXT) | instid1(VALU_DEP_2)
	v_dual_mov_b32 v2, v4 :: v_dual_mov_b32 v7, v9
	v_cmp_eq_u32_e64 s2, s18, v1
	s_add_co_i32 s18, s18, 2
	v_add_nc_u32_e32 v4, 64, v4
	v_lshl_add_u64 v[10:11], v[2:3], 2, s[6:7]
	v_mov_b32_e32 v2, v5
	s_delay_alu instid0(VALU_DEP_1)
	v_lshl_add_u64 v[12:13], v[2:3], 2, s[6:7]
	v_mov_b32_e32 v2, v8
	s_clause 0x1
	global_load_b32 v14, v[10:11], off
	global_load_b32 v15, v[12:13], off
	s_wait_xcnt 0x1
	v_dual_mov_b32 v10, s18 :: v_dual_max_num_f32 v9, v7, v7
	v_dual_max_num_f32 v8, v2, v2 :: v_dual_add_nc_u32 v5, 64, v5
	s_wait_loadcnt 0x1
	v_cmp_u_f32_e64 s3, v14, v14
	s_wait_loadcnt 0x0
	v_cmp_u_f32_e64 s4, v15, v15
	s_delay_alu instid0(VALU_DEP_2) | instskip(NEXT) | instid1(VALU_DEP_2)
	v_cndmask_b32_e64 v12, 0, 1, s3
	v_cndmask_b32_e64 v11, 0, 1, s4
	s_delay_alu instid0(VALU_DEP_1) | instskip(NEXT) | instid1(VALU_DEP_1)
	v_lshlrev_b16 v11, 1, v11
	v_bitop3_b16 v11, v12, 3, v11 bitop3:0xc8
	v_max_num_f32_e32 v12, v14, v14
	s_delay_alu instid0(VALU_DEP_2) | instskip(NEXT) | instid1(VALU_DEP_2)
	v_cmp_ne_u16_e64 s3, 0, v11
	v_dual_max_num_f32 v11, v15, v15 :: v_dual_max_num_f32 v8, v8, v12
	s_or_b32 s2, s3, s2
	s_delay_alu instid0(VALU_DEP_1) | instskip(SKIP_1) | instid1(SALU_CYCLE_1)
	v_max_num_f32_e32 v9, v9, v11
	s_and_b32 s2, exec_lo, s2
	s_or_b32 s19, s2, s19
	s_and_not1_b32 s2, s17, exec_lo
	s_and_b32 s3, s3, exec_lo
	s_delay_alu instid0(SALU_CYCLE_1)
	s_or_b32 s17, s2, s3
	s_and_not1_b32 exec_lo, exec_lo, s19
	s_cbranch_execnz .LBB1_3
; %bb.4:
	s_or_b32 exec_lo, exec_lo, s19
	v_dual_cndmask_b32 v3, v9, v7, s17 :: v_dual_cndmask_b32 v2, v8, v2, s17
	v_add_nc_u32_e32 v4, -4, v10
	v_cmp_ne_u32_e64 s2, v6, v1
	s_delay_alu instid0(VALU_DEP_3) | instskip(NEXT) | instid1(VALU_DEP_3)
	v_dual_max_num_f32 v3, v3, v3 :: v_dual_max_num_f32 v2, v2, v2
	v_cndmask_b32_e64 v4, v1, v4, s17
	s_or_b32 s2, s2, s17
	s_delay_alu instid0(SALU_CYCLE_1) | instskip(NEXT) | instid1(VALU_DEP_2)
	s_or_not1_b32 s4, s2, exec_lo
	v_max_num_f32_e32 v6, v2, v3
	s_delay_alu instid0(VALU_DEP_2)
	v_lshl_add_u32 v2, v4, 5, v0
.LBB1_5:
	s_or_b32 exec_lo, exec_lo, s16
	s_and_saveexec_b32 s3, s4
	s_cbranch_execz .LBB1_9
; %bb.6:
	v_mov_b32_e32 v3, 0
	s_lshl_b64 s[6:7], s[14:15], 2
	s_mov_b32 s4, 0
	s_add_nc_u64 s[6:7], s[12:13], s[6:7]
	s_delay_alu instid0(VALU_DEP_1) | instid1(SALU_CYCLE_1)
	v_lshl_add_u64 v[4:5], v[2:3], 2, s[6:7]
.LBB1_7:                                ; =>This Inner Loop Header: Depth=1
	global_load_b32 v1, v[4:5], off
	v_add_nc_u32_e32 v2, 32, v2
	v_max_num_f32_e32 v3, v6, v6
	s_wait_xcnt 0x0
	v_add_nc_u64_e32 v[4:5], 0x80, v[4:5]
	s_wait_loadcnt 0x0
	v_max_num_f32_e32 v1, v1, v1
	v_cmp_le_i32_e64 s2, s10, v2
	s_delay_alu instid0(VALU_DEP_2) | instskip(SKIP_1) | instid1(SALU_CYCLE_1)
	v_max_num_f32_e32 v6, v3, v1
	s_or_b32 s4, s2, s4
	s_and_not1_b32 exec_lo, exec_lo, s4
	s_cbranch_execnz .LBB1_7
; %bb.8:
	s_or_b32 exec_lo, exec_lo, s4
.LBB1_9:
	s_delay_alu instid0(SALU_CYCLE_1)
	s_or_b32 exec_lo, exec_lo, s3
.LBB1_10:
	s_delay_alu instid0(SALU_CYCLE_1) | instskip(SKIP_2) | instid1(VALU_DEP_2)
	s_or_b32 exec_lo, exec_lo, s5
	v_mbcnt_lo_u32_b32 v2, -1, 0
	v_max_num_f32_e32 v5, v6, v6
	v_xor_b32_e32 v4, 8, v2
	v_xor_b32_e32 v1, 16, v2
	s_delay_alu instid0(VALU_DEP_1) | instskip(NEXT) | instid1(VALU_DEP_1)
	v_cmp_gt_i32_e64 s2, 32, v1
	v_cndmask_b32_e64 v1, v2, v1, s2
	s_delay_alu instid0(VALU_DEP_1) | instskip(SKIP_3) | instid1(VALU_DEP_1)
	v_lshlrev_b32_e32 v1, 2, v1
	ds_bpermute_b32 v3, v1, v6
	s_wait_dscnt 0x0
	v_max_num_f32_e32 v3, v3, v3
	v_max_num_f32_e32 v3, v5, v3
	v_cmp_gt_i32_e64 s2, 32, v4
	s_delay_alu instid0(VALU_DEP_1) | instskip(NEXT) | instid1(VALU_DEP_1)
	v_dual_cndmask_b32 v4, v2, v4, s2 :: v_dual_bitop2_b32 v5, 4, v2 bitop3:0x14
	v_cmp_gt_i32_e64 s2, 32, v5
	s_delay_alu instid0(VALU_DEP_2) | instskip(SKIP_3) | instid1(VALU_DEP_1)
	v_lshlrev_b32_e32 v8, 2, v4
	ds_bpermute_b32 v4, v8, v3
	s_wait_dscnt 0x0
	v_dual_cndmask_b32 v5, v2, v5, s2 :: v_dual_max_num_f32 v4, v4, v4
	v_dual_lshlrev_b32 v9, 2, v5 :: v_dual_max_num_f32 v3, v3, v4
	ds_bpermute_b32 v4, v9, v3
	s_wait_dscnt 0x0
	v_dual_max_num_f32 v4, v4, v4 :: v_dual_bitop2_b32 v5, 2, v2 bitop3:0x14
	s_delay_alu instid0(VALU_DEP_1) | instskip(NEXT) | instid1(VALU_DEP_1)
	v_cmp_gt_i32_e64 s2, 32, v5
	v_dual_max_num_f32 v3, v3, v4 :: v_dual_cndmask_b32 v5, v2, v5, s2
	s_delay_alu instid0(VALU_DEP_1) | instskip(SKIP_3) | instid1(VALU_DEP_1)
	v_dual_lshlrev_b32 v10, 2, v5 :: v_dual_bitop2_b32 v5, 1, v2 bitop3:0x14
	ds_bpermute_b32 v4, v10, v3
	v_cmp_gt_i32_e64 s2, 32, v5
	s_wait_dscnt 0x0
	v_dual_cndmask_b32 v2, v2, v5, s2 :: v_dual_max_num_f32 v4, v4, v4
	s_delay_alu instid0(VALU_DEP_1) | instskip(SKIP_3) | instid1(VALU_DEP_1)
	v_dual_max_num_f32 v2, v3, v4 :: v_dual_lshlrev_b32 v11, 2, v2
	ds_bpermute_b32 v3, v11, v2
	s_wait_dscnt 0x0
	v_dual_max_num_f32 v4, v3, v3 :: v_dual_mov_b32 v3, 0
	v_max_num_f32_e32 v12, v2, v4
	v_lshlrev_b32_e32 v2, 2, v0
	s_and_saveexec_b32 s3, vcc_lo
	s_cbranch_execz .LBB1_14
; %bb.11:
	v_dual_mov_b32 v3, 0 :: v_dual_mov_b32 v6, v0
	s_lshl_b64 s[4:5], s[14:15], 2
	s_delay_alu instid0(SALU_CYCLE_1)
	s_add_nc_u64 s[4:5], s[12:13], s[4:5]
	s_delay_alu instid0(VALU_DEP_1) | instid1(SALU_CYCLE_1)
	v_add_nc_u64_e32 v[4:5], s[4:5], v[2:3]
	s_mov_b32 s4, 0
.LBB1_12:                               ; =>This Inner Loop Header: Depth=1
	global_load_b32 v7, v[4:5], off
	s_wait_xcnt 0x0
	v_add_nc_u64_e32 v[4:5], 0x80, v[4:5]
	s_wait_loadcnt 0x0
	v_dual_sub_f32 v7, v7, v12 :: v_dual_add_nc_u32 v6, 32, v6
	s_delay_alu instid0(VALU_DEP_1) | instskip(NEXT) | instid1(VALU_DEP_1)
	v_mul_f32_e32 v13, 0x3fb8aa3b, v7
	v_fma_f32 v14, 0x3fb8aa3b, v7, -v13
	v_rndne_f32_e32 v15, v13
	s_delay_alu instid0(VALU_DEP_1) | instskip(NEXT) | instid1(VALU_DEP_3)
	v_sub_f32_e32 v13, v13, v15
	v_fmac_f32_e32 v14, 0x32a5705f, v7
	v_cmp_ngt_f32_e64 s2, 0xc2ce8ed0, v7
	s_delay_alu instid0(VALU_DEP_2) | instskip(SKIP_1) | instid1(VALU_DEP_2)
	v_add_f32_e32 v13, v13, v14
	v_cvt_i32_f32_e32 v14, v15
	v_exp_f32_e32 v13, v13
	v_nop
	s_delay_alu instid0(TRANS32_DEP_1) | instskip(NEXT) | instid1(VALU_DEP_1)
	v_ldexp_f32 v13, v13, v14
	v_cndmask_b32_e64 v13, 0, v13, s2
	v_cmp_nlt_f32_e64 s2, 0x42b17218, v7
	s_delay_alu instid0(VALU_DEP_1) | instskip(SKIP_1) | instid1(VALU_DEP_2)
	v_cndmask_b32_e64 v7, 0x7f800000, v13, s2
	v_cmp_le_i32_e64 s2, s10, v6
	v_add_f32_e32 v3, v3, v7
	s_or_b32 s4, s2, s4
	s_delay_alu instid0(SALU_CYCLE_1)
	s_and_not1_b32 exec_lo, exec_lo, s4
	s_cbranch_execnz .LBB1_12
; %bb.13:
	s_or_b32 exec_lo, exec_lo, s4
.LBB1_14:
	s_delay_alu instid0(SALU_CYCLE_1)
	s_or_b32 exec_lo, exec_lo, s3
	ds_bpermute_b32 v4, v1, v3
	s_load_b128 s[4:7], s[0:1], 0x8
	s_wait_dscnt 0x0
	v_add_f32_e32 v3, v3, v4
	ds_bpermute_b32 v4, v8, v3
	s_wait_dscnt 0x0
	v_add_f32_e32 v3, v3, v4
	ds_bpermute_b32 v4, v9, v3
	s_wait_dscnt 0x0
	v_add_f32_e32 v3, v3, v4
	ds_bpermute_b32 v4, v10, v3
	s_wait_dscnt 0x0
	v_dual_add_f32 v4, v3, v4 :: v_dual_mov_b32 v3, 0
	ds_bpermute_b32 v5, v11, v4
	s_wait_xcnt 0x0
	s_and_saveexec_b32 s0, vcc_lo
	s_cbranch_execz .LBB1_18
; %bb.15:
	s_wait_dscnt 0x0
	v_add_f32_e32 v3, v4, v5
	s_mov_b32 s1, 0
	s_delay_alu instid0(VALU_DEP_1) | instskip(SKIP_1) | instid1(VALU_DEP_1)
	v_cmp_gt_f32_e32 vcc_lo, 0x800000, v3
	v_cndmask_b32_e64 v4, 0, 32, vcc_lo
	v_ldexp_f32 v3, v3, v4
	s_delay_alu instid0(VALU_DEP_1) | instskip(SKIP_1) | instid1(TRANS32_DEP_1)
	v_log_f32_e32 v4, v3
	v_nop
	v_mul_f32_e32 v3, 0x3f317217, v4
	s_delay_alu instid0(VALU_DEP_1) | instskip(NEXT) | instid1(VALU_DEP_1)
	v_fma_f32 v3, 0x3f317217, v4, -v3
	v_fmamk_f32 v5, v4, 0x3377d1cf, v3
	v_mov_b32_e32 v3, 0
	s_delay_alu instid0(VALU_DEP_2) | instskip(NEXT) | instid1(VALU_DEP_2)
	v_fmac_f32_e32 v5, 0x3f317217, v4
	v_lshl_add_u64 v[6:7], s[14:15], 2, v[2:3]
	v_cndmask_b32_e64 v2, 0, 0x41b17218, vcc_lo
	v_cmp_gt_f32_e64 vcc_lo, 0x7f800000, |v4|
	s_delay_alu instid0(VALU_DEP_4) | instskip(NEXT) | instid1(VALU_DEP_4)
	v_cndmask_b32_e32 v13, v4, v5, vcc_lo
	v_add_nc_u64_e32 v[4:5], s[12:13], v[6:7]
	s_wait_kmcnt 0x0
	v_add_nc_u64_e32 v[6:7], s[4:5], v[6:7]
	s_delay_alu instid0(VALU_DEP_3)
	v_dual_sub_f32 v2, v13, v2 :: v_dual_mov_b32 v13, v0
.LBB1_16:                               ; =>This Inner Loop Header: Depth=1
	global_load_b32 v14, v[4:5], off
	global_load_b32 v15, v[6:7], off
	s_wait_xcnt 0x1
	v_add_nc_u64_e32 v[4:5], 0x80, v[4:5]
	s_wait_xcnt 0x0
	v_add_nc_u64_e32 v[6:7], 0x80, v[6:7]
	v_add_nc_u32_e32 v13, 32, v13
	s_delay_alu instid0(VALU_DEP_1) | instskip(SKIP_3) | instid1(VALU_DEP_1)
	v_cmp_le_i32_e32 vcc_lo, s10, v13
	s_or_b32 s1, vcc_lo, s1
	s_wait_loadcnt 0x1
	v_sub_f32_e32 v14, v14, v12
	v_sub_f32_e32 v14, v14, v2
	s_wait_loadcnt 0x0
	s_delay_alu instid0(VALU_DEP_1)
	v_fmac_f32_e32 v3, v15, v14
	s_and_not1_b32 exec_lo, exec_lo, s1
	s_cbranch_execnz .LBB1_16
; %bb.17:
	s_or_b32 exec_lo, exec_lo, s1
.LBB1_18:
	s_delay_alu instid0(SALU_CYCLE_1)
	s_or_b32 exec_lo, exec_lo, s0
	ds_bpermute_b32 v1, v1, v3
	s_mov_b32 s0, exec_lo
	s_wait_dscnt 0x0
	v_add_f32_e32 v1, v3, v1
	ds_bpermute_b32 v2, v8, v1
	s_wait_dscnt 0x0
	v_add_f32_e32 v1, v1, v2
	ds_bpermute_b32 v2, v9, v1
	s_wait_dscnt 0x0
	v_add_f32_e32 v1, v1, v2
	ds_bpermute_b32 v2, v10, v1
	s_wait_dscnt 0x0
	v_add_f32_e32 v1, v1, v2
	ds_bpermute_b32 v2, v11, v1
	v_cmpx_eq_u32_e32 0, v0
	s_cbranch_execz .LBB1_20
; %bb.19:
	s_wait_dscnt 0x0
	v_add_f32_e32 v0, v1, v2
	s_cvt_f32_i32 s0, s11
	s_delay_alu instid0(VALU_DEP_1) | instid1(SALU_CYCLE_3)
	v_div_scale_f32 v1, null, s0, s0, -v0
	s_delay_alu instid0(VALU_DEP_1) | instskip(SKIP_1) | instid1(TRANS32_DEP_1)
	v_rcp_f32_e32 v2, v1
	v_nop
	v_fma_f32 v3, -v1, v2, 1.0
	s_delay_alu instid0(VALU_DEP_1) | instskip(SKIP_1) | instid1(VALU_DEP_1)
	v_fmac_f32_e32 v2, v3, v2
	v_div_scale_f32 v4, vcc_lo, -v0, s0, -v0
	v_mul_f32_e32 v3, v4, v2
	s_delay_alu instid0(VALU_DEP_1) | instskip(NEXT) | instid1(VALU_DEP_1)
	v_fma_f32 v5, -v1, v3, v4
	v_fmac_f32_e32 v3, v5, v2
	s_delay_alu instid0(VALU_DEP_1) | instskip(NEXT) | instid1(VALU_DEP_1)
	v_fma_f32 v1, -v1, v3, v4
	v_div_fmas_f32 v1, v1, v2, v3
	s_delay_alu instid0(VALU_DEP_1)
	v_div_fixup_f32 v0, v1, s0, -v0
	v_mov_b32_e32 v1, 0
	s_lshl_b64 s[0:1], s[8:9], 2
	s_wait_kmcnt 0x0
	s_add_nc_u64 s[0:1], s[6:7], s[0:1]
	global_store_b32 v1, v0, s[0:1]
.LBB1_20:
	s_endpgm
	.section	.rodata,"a",@progbits
	.p2align	6, 0x0
	.amdhsa_kernel _ZL22cross_entropy_loss_f32ILb0EEvPKfS1_Pfii
		.amdhsa_group_segment_fixed_size 0
		.amdhsa_private_segment_fixed_size 0
		.amdhsa_kernarg_size 32
		.amdhsa_user_sgpr_count 2
		.amdhsa_user_sgpr_dispatch_ptr 0
		.amdhsa_user_sgpr_queue_ptr 0
		.amdhsa_user_sgpr_kernarg_segment_ptr 1
		.amdhsa_user_sgpr_dispatch_id 0
		.amdhsa_user_sgpr_kernarg_preload_length 0
		.amdhsa_user_sgpr_kernarg_preload_offset 0
		.amdhsa_user_sgpr_private_segment_size 0
		.amdhsa_wavefront_size32 1
		.amdhsa_uses_dynamic_stack 0
		.amdhsa_enable_private_segment 0
		.amdhsa_system_sgpr_workgroup_id_x 1
		.amdhsa_system_sgpr_workgroup_id_y 0
		.amdhsa_system_sgpr_workgroup_id_z 0
		.amdhsa_system_sgpr_workgroup_info 0
		.amdhsa_system_vgpr_workitem_id 0
		.amdhsa_next_free_vgpr 16
		.amdhsa_next_free_sgpr 20
		.amdhsa_named_barrier_count 0
		.amdhsa_reserve_vcc 1
		.amdhsa_float_round_mode_32 0
		.amdhsa_float_round_mode_16_64 0
		.amdhsa_float_denorm_mode_32 3
		.amdhsa_float_denorm_mode_16_64 3
		.amdhsa_fp16_overflow 0
		.amdhsa_memory_ordered 1
		.amdhsa_forward_progress 1
		.amdhsa_inst_pref_size 14
		.amdhsa_round_robin_scheduling 0
		.amdhsa_exception_fp_ieee_invalid_op 0
		.amdhsa_exception_fp_denorm_src 0
		.amdhsa_exception_fp_ieee_div_zero 0
		.amdhsa_exception_fp_ieee_overflow 0
		.amdhsa_exception_fp_ieee_underflow 0
		.amdhsa_exception_fp_ieee_inexact 0
		.amdhsa_exception_int_div_zero 0
	.end_amdhsa_kernel
	.section	.text._ZL22cross_entropy_loss_f32ILb0EEvPKfS1_Pfii,"axG",@progbits,_ZL22cross_entropy_loss_f32ILb0EEvPKfS1_Pfii,comdat
.Lfunc_end1:
	.size	_ZL22cross_entropy_loss_f32ILb0EEvPKfS1_Pfii, .Lfunc_end1-_ZL22cross_entropy_loss_f32ILb0EEvPKfS1_Pfii
                                        ; -- End function
	.set _ZL22cross_entropy_loss_f32ILb0EEvPKfS1_Pfii.num_vgpr, 16
	.set _ZL22cross_entropy_loss_f32ILb0EEvPKfS1_Pfii.num_agpr, 0
	.set _ZL22cross_entropy_loss_f32ILb0EEvPKfS1_Pfii.numbered_sgpr, 20
	.set _ZL22cross_entropy_loss_f32ILb0EEvPKfS1_Pfii.num_named_barrier, 0
	.set _ZL22cross_entropy_loss_f32ILb0EEvPKfS1_Pfii.private_seg_size, 0
	.set _ZL22cross_entropy_loss_f32ILb0EEvPKfS1_Pfii.uses_vcc, 1
	.set _ZL22cross_entropy_loss_f32ILb0EEvPKfS1_Pfii.uses_flat_scratch, 0
	.set _ZL22cross_entropy_loss_f32ILb0EEvPKfS1_Pfii.has_dyn_sized_stack, 0
	.set _ZL22cross_entropy_loss_f32ILb0EEvPKfS1_Pfii.has_recursion, 0
	.set _ZL22cross_entropy_loss_f32ILb0EEvPKfS1_Pfii.has_indirect_call, 0
	.section	.AMDGPU.csdata,"",@progbits
; Kernel info:
; codeLenInByte = 1760
; TotalNumSgprs: 22
; NumVgprs: 16
; ScratchSize: 0
; MemoryBound: 0
; FloatMode: 240
; IeeeMode: 1
; LDSByteSize: 0 bytes/workgroup (compile time only)
; SGPRBlocks: 0
; VGPRBlocks: 0
; NumSGPRsForWavesPerEU: 22
; NumVGPRsForWavesPerEU: 16
; NamedBarCnt: 0
; Occupancy: 16
; WaveLimiterHint : 0
; COMPUTE_PGM_RSRC2:SCRATCH_EN: 0
; COMPUTE_PGM_RSRC2:USER_SGPR: 2
; COMPUTE_PGM_RSRC2:TRAP_HANDLER: 0
; COMPUTE_PGM_RSRC2:TGID_X_EN: 1
; COMPUTE_PGM_RSRC2:TGID_Y_EN: 0
; COMPUTE_PGM_RSRC2:TGID_Z_EN: 0
; COMPUTE_PGM_RSRC2:TIDIG_COMP_CNT: 0
	.section	.text._ZL27cross_entropy_loss_back_f32ILb1EEvPKfS1_S1_Pfi,"axG",@progbits,_ZL27cross_entropy_loss_back_f32ILb1EEvPKfS1_S1_Pfi,comdat
	.globl	_ZL27cross_entropy_loss_back_f32ILb1EEvPKfS1_S1_Pfi ; -- Begin function _ZL27cross_entropy_loss_back_f32ILb1EEvPKfS1_S1_Pfi
	.p2align	8
	.type	_ZL27cross_entropy_loss_back_f32ILb1EEvPKfS1_S1_Pfi,@function
_ZL27cross_entropy_loss_back_f32ILb1EEvPKfS1_S1_Pfi: ; @_ZL27cross_entropy_loss_back_f32ILb1EEvPKfS1_S1_Pfi
; %bb.0:
	s_clause 0x1
	s_load_b32 s8, s[0:1], 0x20
	s_load_b64 s[12:13], s[0:1], 0x0
	s_bfe_u32 s2, ttmp6, 0x4000c
	s_and_b32 s3, ttmp6, 15
	s_add_co_i32 s2, s2, 1
	s_getreg_b32 s4, hwreg(HW_REG_IB_STS2, 6, 4)
	s_mul_i32 s2, ttmp9, s2
	v_mov_b32_e32 v4, 0xff800000
	s_add_co_i32 s2, s3, s2
	s_cmp_eq_u32 s4, 0
	s_mov_b32 s3, 0
	s_cselect_b32 s2, ttmp9, s2
	s_wait_kmcnt 0x0
	v_cmp_gt_i32_e32 vcc_lo, s8, v0
	s_ashr_i32 s9, s8, 31
	s_delay_alu instid0(SALU_CYCLE_1)
	s_mul_u64 s[10:11], s[8:9], s[2:3]
	s_and_saveexec_b32 s4, vcc_lo
	s_cbranch_execz .LBB2_4
; %bb.1:
	s_load_b64 s[6:7], s[0:1], 0x8
	v_dual_mov_b32 v5, 0 :: v_dual_lshlrev_b32 v4, 2, v0
	s_lshl_b64 s[14:15], s[10:11], 2
	s_delay_alu instid0(VALU_DEP_1) | instskip(SKIP_2) | instid1(SALU_CYCLE_1)
	v_add_nc_u32_e32 v1, 0, v4
	s_wait_kmcnt 0x0
	s_add_nc_u64 s[6:7], s[6:7], s[14:15]
	v_add_nc_u64_e32 v[2:3], s[6:7], v[4:5]
	v_dual_mov_b32 v4, 0xff800000 :: v_dual_mov_b32 v5, v0
.LBB2_2:                                ; =>This Inner Loop Header: Depth=1
	global_load_b32 v6, v[2:3], off
	v_dual_max_num_f32 v4, v4, v4 :: v_dual_add_nc_u32 v5, 32, v5
	s_wait_xcnt 0x0
	v_add_nc_u64_e32 v[2:3], 0x80, v[2:3]
	s_delay_alu instid0(VALU_DEP_2)
	v_cmp_le_i32_e64 s2, s8, v5
	s_or_b32 s3, s2, s3
	s_wait_loadcnt 0x0
	v_max_num_f32_e32 v7, v6, v6
	ds_store_b32 v1, v6
	v_dual_max_num_f32 v4, v4, v7 :: v_dual_add_nc_u32 v1, 0x80, v1
	s_and_not1_b32 exec_lo, exec_lo, s3
	s_cbranch_execnz .LBB2_2
; %bb.3:
	s_or_b32 exec_lo, exec_lo, s3
.LBB2_4:
	s_delay_alu instid0(SALU_CYCLE_1) | instskip(SKIP_3) | instid1(VALU_DEP_1)
	s_or_b32 exec_lo, exec_lo, s4
	v_mbcnt_lo_u32_b32 v5, -1, 0
	s_load_b128 s[4:7], s[0:1], 0x10
	s_mov_b32 s9, 0
	v_xor_b32_e32 v1, 16, v5
	v_xor_b32_e32 v3, 8, v5
	s_delay_alu instid0(VALU_DEP_2) | instskip(NEXT) | instid1(VALU_DEP_1)
	v_cmp_gt_i32_e64 s2, 32, v1
	v_cndmask_b32_e64 v1, v5, v1, s2
	s_delay_alu instid0(VALU_DEP_3) | instskip(NEXT) | instid1(VALU_DEP_1)
	v_cmp_gt_i32_e64 s2, 32, v3
	v_dual_cndmask_b32 v3, v5, v3, s2 :: v_dual_lshlrev_b32 v1, 2, v1
	ds_bpermute_b32 v2, v1, v4
	s_wait_dscnt 0x0
	v_dual_max_num_f32 v4, v4, v4 :: v_dual_max_num_f32 v6, v2, v2
	s_delay_alu instid0(VALU_DEP_1) | instskip(SKIP_4) | instid1(VALU_DEP_1)
	v_dual_lshlrev_b32 v2, 2, v3 :: v_dual_max_num_f32 v4, v4, v6
	v_xor_b32_e32 v6, 4, v5
	ds_bpermute_b32 v3, v2, v4
	v_cmp_gt_i32_e64 s2, 32, v6
	s_wait_dscnt 0x0
	v_dual_cndmask_b32 v6, v5, v6, s2 :: v_dual_max_num_f32 v7, v3, v3
	s_delay_alu instid0(VALU_DEP_1) | instskip(SKIP_3) | instid1(VALU_DEP_1)
	v_dual_max_num_f32 v6, v4, v7 :: v_dual_lshlrev_b32 v3, 2, v6
	ds_bpermute_b32 v4, v3, v6
	s_wait_dscnt 0x0
	v_dual_max_num_f32 v8, v4, v4 :: v_dual_bitop2_b32 v7, 2, v5 bitop3:0x14
	v_cmp_gt_i32_e64 s2, 32, v7
	s_delay_alu instid0(VALU_DEP_1) | instskip(NEXT) | instid1(VALU_DEP_1)
	v_dual_max_num_f32 v6, v6, v8 :: v_dual_cndmask_b32 v7, v5, v7, s2
	v_dual_lshlrev_b32 v4, 2, v7 :: v_dual_bitop2_b32 v8, 1, v5 bitop3:0x14
	s_delay_alu instid0(VALU_DEP_1) | instskip(SKIP_3) | instid1(VALU_DEP_1)
	v_cmp_gt_i32_e64 s2, 32, v8
	ds_bpermute_b32 v7, v4, v6
	v_cndmask_b32_e64 v5, v5, v8, s2
	s_wait_dscnt 0x0
	v_dual_lshlrev_b32 v5, 2, v5 :: v_dual_max_num_f32 v7, v7, v7
	s_delay_alu instid0(VALU_DEP_1)
	v_dual_max_num_f32 v7, v6, v7 :: v_dual_mov_b32 v6, 0
	ds_bpermute_b32 v8, v5, v7
	s_and_saveexec_b32 s3, vcc_lo
	s_cbranch_execz .LBB2_8
; %bb.5:
	s_wait_dscnt 0x0
	v_dual_max_num_f32 v8, v8, v8 :: v_dual_max_num_f32 v9, v7, v7
	v_lshl_add_u32 v7, v0, 2, 0
	s_delay_alu instid0(VALU_DEP_2)
	v_dual_mov_b32 v6, 0 :: v_dual_max_num_f32 v8, v9, v8
	v_mov_b32_e32 v9, v0
.LBB2_6:                                ; =>This Inner Loop Header: Depth=1
	ds_load_b32 v10, v7
	s_wait_dscnt 0x0
	v_dual_sub_f32 v10, v10, v8 :: v_dual_add_nc_u32 v9, 32, v9
	s_delay_alu instid0(VALU_DEP_1) | instskip(NEXT) | instid1(VALU_DEP_1)
	v_mul_f32_e32 v11, 0x3fb8aa3b, v10
	v_fma_f32 v12, 0x3fb8aa3b, v10, -v11
	v_rndne_f32_e32 v13, v11
	s_delay_alu instid0(VALU_DEP_1) | instskip(SKIP_1) | instid1(VALU_DEP_2)
	v_dual_sub_f32 v11, v11, v13 :: v_dual_fmac_f32 v12, 0x32a5705f, v10
	v_cmp_ngt_f32_e64 s2, 0xc2ce8ed0, v10
	v_add_f32_e32 v11, v11, v12
	v_cvt_i32_f32_e32 v12, v13
	s_delay_alu instid0(VALU_DEP_2) | instskip(SKIP_1) | instid1(TRANS32_DEP_1)
	v_exp_f32_e32 v11, v11
	v_nop
	v_ldexp_f32 v11, v11, v12
	s_delay_alu instid0(VALU_DEP_1) | instskip(SKIP_1) | instid1(VALU_DEP_1)
	v_cndmask_b32_e64 v11, 0, v11, s2
	v_cmp_nlt_f32_e64 s2, 0x42b17218, v10
	v_cndmask_b32_e64 v10, 0x7f800000, v11, s2
	v_cmp_le_i32_e64 s2, s8, v9
	s_delay_alu instid0(VALU_DEP_2) | instskip(SKIP_3) | instid1(SALU_CYCLE_1)
	v_add_f32_e32 v6, v6, v10
	ds_store_b32 v7, v10
	v_add_nc_u32_e32 v7, 0x80, v7
	s_or_b32 s9, s2, s9
	s_and_not1_b32 exec_lo, exec_lo, s9
	s_cbranch_execnz .LBB2_6
; %bb.7:
	s_or_b32 exec_lo, exec_lo, s9
.LBB2_8:
	s_delay_alu instid0(SALU_CYCLE_1)
	s_or_b32 exec_lo, exec_lo, s3
	ds_bpermute_b32 v1, v1, v6
	s_wait_dscnt 0x0
	v_add_f32_e32 v1, v6, v1
	ds_bpermute_b32 v2, v2, v1
	s_wait_dscnt 0x0
	v_add_f32_e32 v1, v1, v2
	;; [unrolled: 3-line block ×4, first 2 shown]
	ds_bpermute_b32 v2, v5, v1
	s_and_saveexec_b32 s2, vcc_lo
	s_cbranch_execz .LBB2_21
; %bb.9:
	s_load_b32 s2, s[0:1], 0x28
	s_load_b32 s3, s[12:13], 0x0
	s_wait_dscnt 0x0
	v_add_f32_e32 v2, v1, v2
	s_mov_b32 s9, exec_lo
	s_delay_alu instid0(VALU_DEP_1) | instskip(NEXT) | instid1(VALU_DEP_1)
	v_div_scale_f32 v1, null, v2, v2, 1.0
	v_rcp_f32_e32 v4, v1
	v_nop
	s_delay_alu instid0(TRANS32_DEP_1) | instskip(SKIP_2) | instid1(VALU_DEP_1)
	v_fma_f32 v6, -v1, v4, 1.0
	s_wait_kmcnt 0x0
	s_cvt_f32_u32 s1, s2
	v_fmac_f32_e32 v4, v6, v4
	s_delay_alu instid0(SALU_CYCLE_2) | instskip(SKIP_2) | instid1(VALU_DEP_3)
	v_div_scale_f32 v3, null, s1, s1, s3
	v_div_scale_f32 v8, vcc_lo, 1.0, v2, 1.0
	v_div_scale_f32 v6, s0, s3, s1, s3
	v_rcp_f32_e32 v5, v3
	v_nop
	v_xor_b32_e32 v3, 0x80000000, v3
	s_delay_alu instid0(TRANS32_DEP_1) | instid1(VALU_DEP_1)
	v_fma_f32 v7, v3, v5, 1.0
	s_delay_alu instid0(VALU_DEP_1) | instskip(NEXT) | instid1(VALU_DEP_1)
	v_dual_fmac_f32 v5, v7, v5 :: v_dual_mul_f32 v7, v8, v4
	v_dual_mul_f32 v9, v6, v5 :: v_dual_fma_f32 v10, -v1, v7, v8
	s_delay_alu instid0(VALU_DEP_1) | instskip(NEXT) | instid1(VALU_DEP_1)
	v_dual_fma_f32 v11, v3, v9, v6 :: v_dual_fmac_f32 v7, v10, v4
	v_dual_fmac_f32 v9, v11, v5 :: v_dual_fma_f32 v1, -v1, v7, v8
	s_delay_alu instid0(VALU_DEP_1) | instskip(NEXT) | instid1(VALU_DEP_2)
	v_fmac_f32_e32 v6, v3, v9
	v_div_fmas_f32 v3, v1, v4, v7
	s_mov_b32 vcc_lo, s0
	v_xad_u32 v1, v0, -1, s8
	s_mov_b32 s0, -1
	v_div_fmas_f32 v4, v6, v5, v9
	v_div_fixup_f32 v2, v3, v2, 1.0
	s_delay_alu instid0(VALU_DEP_2)
	v_div_fixup_f32 v4, v4, s1, s3
	v_cmpx_lt_u32_e32 31, v1
	s_cbranch_execz .LBB2_18
; %bb.10:
	s_delay_alu instid0(VALU_DEP_3) | instskip(SKIP_3) | instid1(VALU_DEP_2)
	v_dual_mov_b32 v3, v2 :: v_dual_lshrrev_b32 v10, 5, v1
	s_lshl_b64 s[2:3], s[10:11], 2
	v_add_nc_u32_e32 v1, 32, v0
	s_add_nc_u64 s[0:1], s[4:5], s[2:3]
	v_add_nc_u32_e32 v6, -1, v10
	s_add_nc_u64 s[2:3], s[6:7], s[2:3]
	s_delay_alu instid0(VALU_DEP_1) | instskip(SKIP_2) | instid1(VALU_DEP_3)
	v_dual_mov_b32 v5, v4 :: v_dual_lshrrev_b32 v7, 1, v6
	v_mov_b32_e32 v8, 0
	v_cmp_lt_u32_e32 vcc_lo, 5, v6
	v_add_nc_u32_e32 v11, 1, v7
	v_mov_b64_e32 v[6:7], v[0:1]
	s_and_saveexec_b32 s12, vcc_lo
	s_cbranch_execz .LBB2_14
; %bb.11:
	v_mov_b64_e32 v[6:7], v[0:1]
	v_dual_mov_b32 v9, 0 :: v_dual_bitop2_b32 v12, -4, v11 bitop3:0x40
	v_lshl_add_u32 v13, v0, 2, 0
	s_mov_b32 s13, 0
	s_mov_b32 s14, 0
.LBB2_12:                               ; =>This Inner Loop Header: Depth=1
	s_delay_alu instid0(VALU_DEP_3) | instskip(SKIP_2) | instid1(VALU_DEP_3)
	v_dual_mov_b32 v8, v6 :: v_dual_add_nc_u32 v14, 64, v7
	v_dual_mov_b32 v19, v9 :: v_dual_mov_b32 v15, v9
	v_add_nc_u32_e32 v16, 0x80, v7
	v_lshlrev_b64_e32 v[20:21], 2, v[8:9]
	v_dual_mov_b32 v8, v7 :: v_dual_mov_b32 v17, v9
	v_add_nc_u32_e32 v18, 0xc0, v7
	v_lshlrev_b64_e32 v[14:15], 2, v[14:15]
	v_add_nc_u32_e32 v12, -4, v12
	s_delay_alu instid0(VALU_DEP_4)
	v_lshlrev_b64_e32 v[22:23], 2, v[8:9]
	v_add_nc_u32_e32 v8, 64, v6
	v_add_nc_u64_e32 v[24:25], s[0:1], v[20:21]
	v_lshlrev_b64_e32 v[16:17], 2, v[16:17]
	v_lshlrev_b64_e32 v[18:19], 2, v[18:19]
	v_add_nc_u64_e32 v[26:27], s[0:1], v[14:15]
	v_lshlrev_b64_e32 v[32:33], 2, v[8:9]
	v_add_nc_u32_e32 v8, 0x80, v6
	v_add_nc_u64_e32 v[34:35], s[0:1], v[22:23]
	global_load_b32 v24, v[24:25], off
	v_add_nc_u64_e32 v[28:29], s[0:1], v[16:17]
	v_add_nc_u64_e32 v[30:31], s[0:1], v[18:19]
	v_lshlrev_b64_e32 v[36:37], 2, v[8:9]
	v_add_nc_u64_e32 v[38:39], s[0:1], v[32:33]
	v_add_nc_u32_e32 v8, 0xc0, v6
	v_add_nc_u64_e32 v[20:21], s[2:3], v[20:21]
	v_add_nc_u64_e32 v[22:23], s[2:3], v[22:23]
	s_add_co_i32 s14, s14, 8
	v_cmp_eq_u32_e32 vcc_lo, 0, v12
	v_lshlrev_b64_e32 v[40:41], 2, v[8:9]
	s_clause 0x1
	global_load_b32 v38, v[38:39], off
	global_load_b32 v25, v[34:35], off
	s_wait_xcnt 0x0
	v_add_nc_u64_e32 v[34:35], s[0:1], v[36:37]
	v_add_nc_u64_e32 v[14:15], s[2:3], v[14:15]
	v_add_nc_u64_e32 v[32:33], s[2:3], v[32:33]
	v_add_nc_u64_e32 v[36:37], s[2:3], v[36:37]
	v_add_nc_u64_e32 v[42:43], s[0:1], v[40:41]
	s_clause 0x4
	global_load_b32 v39, v[26:27], off
	global_load_b32 v44, v[34:35], off
	;; [unrolled: 1-line block ×5, first 2 shown]
	s_wait_xcnt 0x4
	ds_load_2addr_b32 v[26:27], v13 offset1:32
	s_wait_xcnt 0x2
	ds_load_2addr_b32 v[28:29], v13 offset0:64 offset1:96
	s_wait_xcnt 0x0
	ds_load_2addr_b32 v[30:31], v13 offset0:128 offset1:160
	ds_load_2addr_b32 v[34:35], v13 offset0:192 offset1:224
	v_dual_mov_b32 v8, s14 :: v_dual_add_nc_u32 v13, 0x400, v13
	v_add_nc_u32_e32 v7, 0x100, v7
	v_add_nc_u64_e32 v[16:17], s[2:3], v[16:17]
	v_add_nc_u32_e32 v6, 0x100, v6
	v_add_nc_u64_e32 v[40:41], s[2:3], v[40:41]
	v_add_nc_u64_e32 v[18:19], s[2:3], v[18:19]
	s_or_b32 s13, vcc_lo, s13
	s_wait_loadcnt_dscnt 0x503
	v_pk_fma_f32 v[24:25], v[2:3], v[26:27], v[24:25] neg_lo:[0,0,1] neg_hi:[0,0,1]
	s_wait_loadcnt_dscnt 0x402
	v_pk_fma_f32 v[26:27], v[2:3], v[28:29], v[38:39] neg_lo:[0,0,1] neg_hi:[0,0,1]
	s_delay_alu instid0(VALU_DEP_2) | instskip(SKIP_2) | instid1(VALU_DEP_3)
	v_pk_mul_f32 v[24:25], v[4:5], v[24:25]
	s_wait_loadcnt_dscnt 0x0
	v_pk_fma_f32 v[28:29], v[2:3], v[34:35], v[46:47] neg_lo:[0,0,1] neg_hi:[0,0,1]
	v_pk_mul_f32 v[26:27], v[4:5], v[26:27]
	global_store_b32 v[20:21], v24, off
	s_wait_xcnt 0x0
	v_pk_fma_f32 v[20:21], v[2:3], v[30:31], v[44:45] neg_lo:[0,0,1] neg_hi:[0,0,1]
	global_store_b32 v[22:23], v25, off
	s_wait_xcnt 0x0
	v_pk_mul_f32 v[22:23], v[4:5], v[28:29]
	global_store_b32 v[32:33], v26, off
	v_pk_mul_f32 v[20:21], v[4:5], v[20:21]
	s_clause 0x4
	global_store_b32 v[14:15], v27, off
	global_store_b32 v[36:37], v20, off
	;; [unrolled: 1-line block ×5, first 2 shown]
	s_wait_xcnt 0x0
	s_and_not1_b32 exec_lo, exec_lo, s13
	s_cbranch_execnz .LBB2_12
; %bb.13:
	s_or_b32 exec_lo, exec_lo, s13
.LBB2_14:
	s_delay_alu instid0(SALU_CYCLE_1) | instskip(SKIP_3) | instid1(VALU_DEP_1)
	s_or_b32 exec_lo, exec_lo, s12
	v_and_b32_e32 v1, 3, v11
	s_mov_b32 s13, 0
	s_mov_b32 s12, exec_lo
	v_cmpx_ne_u32_e32 0, v1
	s_cbranch_execz .LBB2_17
; %bb.15:
	v_lshlrev_b32_e32 v8, 7, v8
	v_lshlrev_b32_e32 v9, 2, v0
	s_delay_alu instid0(VALU_DEP_1)
	v_add3_u32 v11, v8, v9, 0
	v_mov_b32_e32 v9, 0
.LBB2_16:                               ; =>This Inner Loop Header: Depth=1
	v_dual_mov_b32 v8, v6 :: v_dual_add_nc_u32 v1, -1, v1
	v_add_nc_u32_e32 v6, 64, v6
	s_delay_alu instid0(VALU_DEP_2) | instskip(SKIP_1) | instid1(VALU_DEP_4)
	v_lshlrev_b64_e32 v[12:13], 2, v[8:9]
	v_mov_b32_e32 v8, v7
	v_cmp_eq_u32_e32 vcc_lo, 0, v1
	v_add_nc_u32_e32 v7, 64, v7
	s_delay_alu instid0(VALU_DEP_3) | instskip(SKIP_3) | instid1(VALU_DEP_3)
	v_lshlrev_b64_e32 v[14:15], 2, v[8:9]
	v_add_nc_u64_e32 v[16:17], s[0:1], v[12:13]
	v_add_nc_u64_e32 v[12:13], s[2:3], v[12:13]
	s_or_b32 s13, vcc_lo, s13
	v_add_nc_u64_e32 v[18:19], s[0:1], v[14:15]
	v_add_nc_u64_e32 v[14:15], s[2:3], v[14:15]
	s_clause 0x1
	global_load_b32 v20, v[16:17], off
	global_load_b32 v21, v[18:19], off
	s_wait_xcnt 0x1
	ds_load_2addr_b32 v[16:17], v11 offset1:32
	v_add_nc_u32_e32 v11, 0x100, v11
	s_wait_loadcnt_dscnt 0x0
	v_pk_fma_f32 v[16:17], v[2:3], v[16:17], v[20:21] neg_lo:[0,0,1] neg_hi:[0,0,1]
	s_delay_alu instid0(VALU_DEP_1)
	v_pk_mul_f32 v[16:17], v[4:5], v[16:17]
	s_clause 0x1
	global_store_b32 v[12:13], v16, off
	global_store_b32 v[14:15], v17, off
	s_wait_xcnt 0x0
	s_and_not1_b32 exec_lo, exec_lo, s13
	s_cbranch_execnz .LBB2_16
.LBB2_17:
	s_or_b32 exec_lo, exec_lo, s12
	v_add_nc_u32_e32 v1, 1, v10
	s_delay_alu instid0(VALU_DEP_1) | instskip(NEXT) | instid1(VALU_DEP_1)
	v_and_b32_e32 v3, 0xffffffe, v1
	v_cmp_ne_u32_e32 vcc_lo, v1, v3
	v_lshl_add_u32 v0, v3, 5, v0
	s_or_not1_b32 s0, vcc_lo, exec_lo
.LBB2_18:
	s_or_b32 exec_lo, exec_lo, s9
	s_delay_alu instid0(SALU_CYCLE_1)
	s_and_b32 exec_lo, exec_lo, s0
	s_cbranch_execz .LBB2_21
; %bb.19:
	v_mov_b32_e32 v1, 0
	s_mov_b32 s0, 0
	s_delay_alu instid0(VALU_DEP_1) | instskip(SKIP_1) | instid1(VALU_DEP_2)
	v_lshlrev_b64_e32 v[6:7], 2, v[0:1]
	v_lshl_add_u32 v1, v0, 2, 0
	v_lshl_add_u64 v[8:9], s[10:11], 2, v[6:7]
	s_delay_alu instid0(VALU_DEP_1)
	v_add_nc_u64_e32 v[6:7], s[4:5], v[8:9]
	v_add_nc_u64_e32 v[8:9], s[6:7], v[8:9]
.LBB2_20:                               ; =>This Inner Loop Header: Depth=1
	global_load_b32 v3, v[6:7], off
	ds_load_b32 v5, v1
	s_wait_xcnt 0x0
	v_add_nc_u64_e32 v[6:7], 0x80, v[6:7]
	v_add_nc_u32_e32 v1, 0x80, v1
	v_add_nc_u32_e32 v0, 32, v0
	s_delay_alu instid0(VALU_DEP_1) | instskip(SKIP_3) | instid1(VALU_DEP_1)
	v_cmp_le_i32_e32 vcc_lo, s8, v0
	s_or_b32 s0, vcc_lo, s0
	s_wait_loadcnt_dscnt 0x0
	v_fma_f32 v3, v2, v5, -v3
	v_mul_f32_e32 v3, v4, v3
	global_store_b32 v[8:9], v3, off
	s_wait_xcnt 0x0
	v_add_nc_u64_e32 v[8:9], 0x80, v[8:9]
	s_and_not1_b32 exec_lo, exec_lo, s0
	s_cbranch_execnz .LBB2_20
.LBB2_21:
	s_endpgm
	.section	.rodata,"a",@progbits
	.p2align	6, 0x0
	.amdhsa_kernel _ZL27cross_entropy_loss_back_f32ILb1EEvPKfS1_S1_Pfi
		.amdhsa_group_segment_fixed_size 0
		.amdhsa_private_segment_fixed_size 0
		.amdhsa_kernarg_size 296
		.amdhsa_user_sgpr_count 2
		.amdhsa_user_sgpr_dispatch_ptr 0
		.amdhsa_user_sgpr_queue_ptr 0
		.amdhsa_user_sgpr_kernarg_segment_ptr 1
		.amdhsa_user_sgpr_dispatch_id 0
		.amdhsa_user_sgpr_kernarg_preload_length 0
		.amdhsa_user_sgpr_kernarg_preload_offset 0
		.amdhsa_user_sgpr_private_segment_size 0
		.amdhsa_wavefront_size32 1
		.amdhsa_uses_dynamic_stack 0
		.amdhsa_enable_private_segment 0
		.amdhsa_system_sgpr_workgroup_id_x 1
		.amdhsa_system_sgpr_workgroup_id_y 0
		.amdhsa_system_sgpr_workgroup_id_z 0
		.amdhsa_system_sgpr_workgroup_info 0
		.amdhsa_system_vgpr_workitem_id 0
		.amdhsa_next_free_vgpr 48
		.amdhsa_next_free_sgpr 16
		.amdhsa_named_barrier_count 0
		.amdhsa_reserve_vcc 1
		.amdhsa_float_round_mode_32 0
		.amdhsa_float_round_mode_16_64 0
		.amdhsa_float_denorm_mode_32 3
		.amdhsa_float_denorm_mode_16_64 3
		.amdhsa_fp16_overflow 0
		.amdhsa_memory_ordered 1
		.amdhsa_forward_progress 1
		.amdhsa_inst_pref_size 18
		.amdhsa_round_robin_scheduling 0
		.amdhsa_exception_fp_ieee_invalid_op 0
		.amdhsa_exception_fp_denorm_src 0
		.amdhsa_exception_fp_ieee_div_zero 0
		.amdhsa_exception_fp_ieee_overflow 0
		.amdhsa_exception_fp_ieee_underflow 0
		.amdhsa_exception_fp_ieee_inexact 0
		.amdhsa_exception_int_div_zero 0
	.end_amdhsa_kernel
	.section	.text._ZL27cross_entropy_loss_back_f32ILb1EEvPKfS1_S1_Pfi,"axG",@progbits,_ZL27cross_entropy_loss_back_f32ILb1EEvPKfS1_S1_Pfi,comdat
.Lfunc_end2:
	.size	_ZL27cross_entropy_loss_back_f32ILb1EEvPKfS1_S1_Pfi, .Lfunc_end2-_ZL27cross_entropy_loss_back_f32ILb1EEvPKfS1_S1_Pfi
                                        ; -- End function
	.set _ZL27cross_entropy_loss_back_f32ILb1EEvPKfS1_S1_Pfi.num_vgpr, 48
	.set _ZL27cross_entropy_loss_back_f32ILb1EEvPKfS1_S1_Pfi.num_agpr, 0
	.set _ZL27cross_entropy_loss_back_f32ILb1EEvPKfS1_S1_Pfi.numbered_sgpr, 16
	.set _ZL27cross_entropy_loss_back_f32ILb1EEvPKfS1_S1_Pfi.num_named_barrier, 0
	.set _ZL27cross_entropy_loss_back_f32ILb1EEvPKfS1_S1_Pfi.private_seg_size, 0
	.set _ZL27cross_entropy_loss_back_f32ILb1EEvPKfS1_S1_Pfi.uses_vcc, 1
	.set _ZL27cross_entropy_loss_back_f32ILb1EEvPKfS1_S1_Pfi.uses_flat_scratch, 0
	.set _ZL27cross_entropy_loss_back_f32ILb1EEvPKfS1_S1_Pfi.has_dyn_sized_stack, 0
	.set _ZL27cross_entropy_loss_back_f32ILb1EEvPKfS1_S1_Pfi.has_recursion, 0
	.set _ZL27cross_entropy_loss_back_f32ILb1EEvPKfS1_S1_Pfi.has_indirect_call, 0
	.section	.AMDGPU.csdata,"",@progbits
; Kernel info:
; codeLenInByte = 2208
; TotalNumSgprs: 18
; NumVgprs: 48
; ScratchSize: 0
; MemoryBound: 0
; FloatMode: 240
; IeeeMode: 1
; LDSByteSize: 0 bytes/workgroup (compile time only)
; SGPRBlocks: 0
; VGPRBlocks: 2
; NumSGPRsForWavesPerEU: 18
; NumVGPRsForWavesPerEU: 48
; NamedBarCnt: 0
; Occupancy: 16
; WaveLimiterHint : 0
; COMPUTE_PGM_RSRC2:SCRATCH_EN: 0
; COMPUTE_PGM_RSRC2:USER_SGPR: 2
; COMPUTE_PGM_RSRC2:TRAP_HANDLER: 0
; COMPUTE_PGM_RSRC2:TGID_X_EN: 1
; COMPUTE_PGM_RSRC2:TGID_Y_EN: 0
; COMPUTE_PGM_RSRC2:TGID_Z_EN: 0
; COMPUTE_PGM_RSRC2:TIDIG_COMP_CNT: 0
	.section	.text._ZL27cross_entropy_loss_back_f32ILb0EEvPKfS1_S1_Pfi,"axG",@progbits,_ZL27cross_entropy_loss_back_f32ILb0EEvPKfS1_S1_Pfi,comdat
	.globl	_ZL27cross_entropy_loss_back_f32ILb0EEvPKfS1_S1_Pfi ; -- Begin function _ZL27cross_entropy_loss_back_f32ILb0EEvPKfS1_S1_Pfi
	.p2align	8
	.type	_ZL27cross_entropy_loss_back_f32ILb0EEvPKfS1_S1_Pfi,@function
_ZL27cross_entropy_loss_back_f32ILb0EEvPKfS1_S1_Pfi: ; @_ZL27cross_entropy_loss_back_f32ILb0EEvPKfS1_S1_Pfi
; %bb.0:
	s_clause 0x1
	s_load_b32 s6, s[0:1], 0x20
	s_load_b64 s[10:11], s[0:1], 0x8
	s_bfe_u32 s2, ttmp6, 0x4000c
	s_and_b32 s4, ttmp6, 15
	s_add_co_i32 s2, s2, 1
	s_getreg_b32 s5, hwreg(HW_REG_IB_STS2, 6, 4)
	s_mul_i32 s2, ttmp9, s2
	v_mov_b32_e32 v6, 0xff800000
	s_add_co_i32 s4, s4, s2
	s_cmp_eq_u32 s5, 0
	s_mov_b32 s3, 0
	s_cselect_b32 s2, ttmp9, s4
	s_wait_kmcnt 0x0
	v_cmp_gt_i32_e32 vcc_lo, s6, v0
	v_xad_u32 v8, v0, -1, s6
	s_ashr_i32 s7, s6, 31
	s_delay_alu instid0(SALU_CYCLE_1)
	s_mul_u64 s[8:9], s[6:7], s[2:3]
	s_and_saveexec_b32 s5, vcc_lo
	s_cbranch_execz .LBB3_10
; %bb.1:
	v_mov_b32_e32 v6, 0xff800000
	v_mov_b32_e32 v2, v0
	s_mov_b32 s4, -1
	s_mov_b32 s7, exec_lo
	v_cmpx_lt_u32_e32 31, v8
	s_cbranch_execz .LBB3_5
; %bb.2:
	v_dual_mov_b32 v9, 0xff800000 :: v_dual_lshrrev_b32 v2, 5, v8
	v_dual_add_nc_u32 v1, 32, v0 :: v_dual_mov_b32 v3, 0
	v_mov_b32_e32 v10, 0xff800000
	s_delay_alu instid0(VALU_DEP_3) | instskip(SKIP_1) | instid1(VALU_DEP_3)
	v_add_nc_u32_e32 v6, 1, v2
	s_lshl_b64 s[2:3], s[8:9], 2
	v_mov_b64_e32 v[4:5], v[0:1]
	s_mov_b32 s15, 2
	s_add_nc_u64 s[12:13], s[10:11], s[2:3]
	v_and_b32_e32 v1, 0xffffffe, v6
	s_mov_b32 s16, 0
                                        ; implicit-def: $sgpr14
.LBB3_3:                                ; =>This Inner Loop Header: Depth=1
	s_delay_alu instid0(VALU_DEP_2) | instskip(NEXT) | instid1(VALU_DEP_2)
	v_dual_mov_b32 v2, v4 :: v_dual_mov_b32 v7, v10
	v_cmp_eq_u32_e64 s2, s15, v1
	s_add_co_i32 s15, s15, 2
	v_add_nc_u32_e32 v4, 64, v4
	v_lshl_add_u64 v[12:13], v[2:3], 2, s[12:13]
	v_dual_mov_b32 v2, v5 :: v_dual_mov_b32 v11, s15
	s_delay_alu instid0(VALU_DEP_1)
	v_lshl_add_u64 v[14:15], v[2:3], 2, s[12:13]
	v_dual_mov_b32 v2, v9 :: v_dual_max_num_f32 v10, v7, v7
	s_clause 0x1
	global_load_b32 v16, v[12:13], off
	global_load_b32 v17, v[14:15], off
	v_dual_add_nc_u32 v5, 64, v5 :: v_dual_max_num_f32 v9, v2, v2
	s_wait_loadcnt 0x1
	v_cmp_u_f32_e64 s3, v16, v16
	s_wait_loadcnt 0x0
	v_cmp_u_f32_e64 s4, v17, v17
	s_delay_alu instid0(VALU_DEP_2) | instskip(NEXT) | instid1(VALU_DEP_2)
	v_cndmask_b32_e64 v13, 0, 1, s3
	v_cndmask_b32_e64 v12, 0, 1, s4
	s_delay_alu instid0(VALU_DEP_1) | instskip(NEXT) | instid1(VALU_DEP_1)
	v_lshlrev_b16 v12, 1, v12
	v_bitop3_b16 v12, v13, 3, v12 bitop3:0xc8
	v_max_num_f32_e32 v13, v16, v16
	s_delay_alu instid0(VALU_DEP_2) | instskip(SKIP_1) | instid1(VALU_DEP_3)
	v_cmp_ne_u16_e64 s3, 0, v12
	v_max_num_f32_e32 v12, v17, v17
	v_max_num_f32_e32 v9, v9, v13
	s_or_b32 s2, s3, s2
	s_delay_alu instid0(VALU_DEP_2) | instskip(SKIP_1) | instid1(SALU_CYCLE_1)
	v_max_num_f32_e32 v10, v10, v12
	s_and_b32 s2, exec_lo, s2
	s_or_b32 s16, s2, s16
	s_and_not1_b32 s2, s14, exec_lo
	s_and_b32 s3, s3, exec_lo
	s_delay_alu instid0(SALU_CYCLE_1)
	s_or_b32 s14, s2, s3
	s_and_not1_b32 exec_lo, exec_lo, s16
	s_cbranch_execnz .LBB3_3
; %bb.4:
	s_or_b32 exec_lo, exec_lo, s16
	v_dual_cndmask_b32 v3, v10, v7, s14 :: v_dual_cndmask_b32 v2, v9, v2, s14
	v_add_nc_u32_e32 v4, -4, v11
	v_cmp_ne_u32_e64 s2, v6, v1
	s_delay_alu instid0(VALU_DEP_3) | instskip(NEXT) | instid1(VALU_DEP_3)
	v_dual_max_num_f32 v2, v2, v2 :: v_dual_max_num_f32 v3, v3, v3
	v_cndmask_b32_e64 v4, v1, v4, s14
	s_or_b32 s2, s2, s14
	s_delay_alu instid0(SALU_CYCLE_1) | instskip(NEXT) | instid1(VALU_DEP_2)
	s_or_not1_b32 s4, s2, exec_lo
	v_max_num_f32_e32 v6, v2, v3
	s_delay_alu instid0(VALU_DEP_2)
	v_lshl_add_u32 v2, v4, 5, v0
.LBB3_5:
	s_or_b32 exec_lo, exec_lo, s7
	s_and_saveexec_b32 s3, s4
	s_cbranch_execz .LBB3_9
; %bb.6:
	v_mov_b32_e32 v3, 0
	s_lshl_b64 s[12:13], s[8:9], 2
	s_mov_b32 s4, 0
	s_add_nc_u64 s[12:13], s[10:11], s[12:13]
	s_delay_alu instid0(VALU_DEP_1) | instid1(SALU_CYCLE_1)
	v_lshl_add_u64 v[4:5], v[2:3], 2, s[12:13]
.LBB3_7:                                ; =>This Inner Loop Header: Depth=1
	global_load_b32 v1, v[4:5], off
	v_add_nc_u32_e32 v2, 32, v2
	v_max_num_f32_e32 v3, v6, v6
	s_wait_xcnt 0x0
	v_add_nc_u64_e32 v[4:5], 0x80, v[4:5]
	s_wait_loadcnt 0x0
	v_max_num_f32_e32 v1, v1, v1
	v_cmp_le_i32_e64 s2, s6, v2
	s_delay_alu instid0(VALU_DEP_2) | instskip(SKIP_1) | instid1(SALU_CYCLE_1)
	v_max_num_f32_e32 v6, v3, v1
	s_or_b32 s4, s2, s4
	s_and_not1_b32 exec_lo, exec_lo, s4
	s_cbranch_execnz .LBB3_7
; %bb.8:
	s_or_b32 exec_lo, exec_lo, s4
.LBB3_9:
	s_delay_alu instid0(SALU_CYCLE_1)
	s_or_b32 exec_lo, exec_lo, s3
.LBB3_10:
	s_delay_alu instid0(SALU_CYCLE_1)
	s_or_b32 exec_lo, exec_lo, s5
	v_mbcnt_lo_u32_b32 v2, -1, 0
	s_clause 0x1
	s_load_b64 s[12:13], s[0:1], 0x0
	s_load_b64 s[4:5], s[0:1], 0x18
	v_max_num_f32_e32 v5, v6, v6
	v_xor_b32_e32 v4, 8, v2
	v_xor_b32_e32 v1, 16, v2
	s_delay_alu instid0(VALU_DEP_1) | instskip(NEXT) | instid1(VALU_DEP_1)
	v_cmp_gt_i32_e64 s2, 32, v1
	v_cndmask_b32_e64 v1, v2, v1, s2
	s_delay_alu instid0(VALU_DEP_1) | instskip(SKIP_3) | instid1(VALU_DEP_1)
	v_lshlrev_b32_e32 v1, 2, v1
	ds_bpermute_b32 v3, v1, v6
	s_wait_dscnt 0x0
	v_max_num_f32_e32 v3, v3, v3
	v_max_num_f32_e32 v3, v5, v3
	v_cmp_gt_i32_e64 s2, 32, v4
	s_delay_alu instid0(VALU_DEP_1) | instskip(NEXT) | instid1(VALU_DEP_1)
	v_dual_cndmask_b32 v4, v2, v4, s2 :: v_dual_bitop2_b32 v5, 4, v2 bitop3:0x14
	v_cmp_gt_i32_e64 s2, 32, v5
	s_delay_alu instid0(VALU_DEP_2) | instskip(SKIP_3) | instid1(VALU_DEP_1)
	v_lshlrev_b32_e32 v9, 2, v4
	ds_bpermute_b32 v4, v9, v3
	s_wait_dscnt 0x0
	v_dual_cndmask_b32 v5, v2, v5, s2 :: v_dual_max_num_f32 v4, v4, v4
	v_dual_max_num_f32 v3, v3, v4 :: v_dual_lshlrev_b32 v10, 2, v5
	ds_bpermute_b32 v4, v10, v3
	s_wait_dscnt 0x0
	v_dual_max_num_f32 v4, v4, v4 :: v_dual_bitop2_b32 v5, 2, v2 bitop3:0x14
	s_delay_alu instid0(VALU_DEP_1) | instskip(NEXT) | instid1(VALU_DEP_1)
	v_cmp_gt_i32_e64 s2, 32, v5
	v_dual_max_num_f32 v3, v3, v4 :: v_dual_cndmask_b32 v5, v2, v5, s2
	s_delay_alu instid0(VALU_DEP_1) | instskip(SKIP_2) | instid1(VALU_DEP_1)
	v_dual_lshlrev_b32 v11, 2, v5 :: v_dual_bitop2_b32 v5, 1, v2 bitop3:0x14
	ds_bpermute_b32 v4, v11, v3
	v_cmp_gt_i32_e64 s2, 32, v5
	v_cndmask_b32_e64 v2, v2, v5, s2
	s_wait_dscnt 0x0
	s_delay_alu instid0(VALU_DEP_1) | instskip(NEXT) | instid1(VALU_DEP_1)
	v_dual_lshlrev_b32 v12, 2, v2 :: v_dual_max_num_f32 v4, v4, v4
	v_dual_max_num_f32 v4, v3, v4 :: v_dual_mov_b32 v3, 0
	ds_bpermute_b32 v5, v12, v4
	s_and_saveexec_b32 s3, vcc_lo
	s_cbranch_execz .LBB3_14
; %bb.11:
	v_dual_mov_b32 v3, 0 :: v_dual_lshlrev_b32 v2, 2, v0
	s_mov_b32 s7, 0
	v_max_num_f32_e32 v13, v4, v4
	s_delay_alu instid0(VALU_DEP_2) | instskip(SKIP_2) | instid1(VALU_DEP_2)
	v_lshl_add_u64 v[6:7], s[8:9], 2, v[2:3]
	s_wait_dscnt 0x0
	v_max_num_f32_e32 v2, v5, v5
	v_add_nc_u64_e32 v[4:5], s[10:11], v[6:7]
	s_wait_kmcnt 0x0
	v_add_nc_u64_e32 v[6:7], s[4:5], v[6:7]
	s_delay_alu instid0(VALU_DEP_3)
	v_dual_max_num_f32 v2, v13, v2 :: v_dual_mov_b32 v13, v0
.LBB3_12:                               ; =>This Inner Loop Header: Depth=1
	global_load_b32 v14, v[4:5], off
	s_wait_xcnt 0x0
	v_add_nc_u64_e32 v[4:5], 0x80, v[4:5]
	s_wait_loadcnt 0x0
	v_dual_sub_f32 v14, v14, v2 :: v_dual_add_nc_u32 v13, 32, v13
	s_delay_alu instid0(VALU_DEP_1) | instskip(NEXT) | instid1(VALU_DEP_1)
	v_mul_f32_e32 v15, 0x3fb8aa3b, v14
	v_fma_f32 v16, 0x3fb8aa3b, v14, -v15
	v_rndne_f32_e32 v17, v15
	s_delay_alu instid0(VALU_DEP_1) | instskip(SKIP_1) | instid1(VALU_DEP_2)
	v_dual_sub_f32 v15, v15, v17 :: v_dual_fmac_f32 v16, 0x32a5705f, v14
	v_cmp_ngt_f32_e64 s2, 0xc2ce8ed0, v14
	v_add_f32_e32 v15, v15, v16
	v_cvt_i32_f32_e32 v16, v17
	s_delay_alu instid0(VALU_DEP_2) | instskip(SKIP_1) | instid1(TRANS32_DEP_1)
	v_exp_f32_e32 v15, v15
	v_nop
	v_ldexp_f32 v15, v15, v16
	s_delay_alu instid0(VALU_DEP_1) | instskip(SKIP_1) | instid1(VALU_DEP_1)
	v_cndmask_b32_e64 v15, 0, v15, s2
	v_cmp_nlt_f32_e64 s2, 0x42b17218, v14
	v_cndmask_b32_e64 v14, 0x7f800000, v15, s2
	v_cmp_le_i32_e64 s2, s6, v13
	global_store_b32 v[6:7], v14, off
	s_wait_xcnt 0x0
	v_add_nc_u64_e32 v[6:7], 0x80, v[6:7]
	v_add_f32_e32 v3, v3, v14
	s_or_b32 s7, s2, s7
	s_delay_alu instid0(SALU_CYCLE_1)
	s_and_not1_b32 exec_lo, exec_lo, s7
	s_cbranch_execnz .LBB3_12
; %bb.13:
	s_or_b32 exec_lo, exec_lo, s7
.LBB3_14:
	s_delay_alu instid0(SALU_CYCLE_1)
	s_or_b32 exec_lo, exec_lo, s3
	ds_bpermute_b32 v1, v1, v3
	s_load_b64 s[2:3], s[0:1], 0x10
	s_wait_dscnt 0x0
	v_add_f32_e32 v1, v3, v1
	ds_bpermute_b32 v2, v9, v1
	s_wait_dscnt 0x0
	v_add_f32_e32 v1, v1, v2
	ds_bpermute_b32 v2, v10, v1
	;; [unrolled: 3-line block ×4, first 2 shown]
	s_and_saveexec_b32 s7, vcc_lo
	s_cbranch_execz .LBB3_22
; %bb.15:
	s_load_b32 s7, s[0:1], 0x28
	s_wait_kmcnt 0x0
	s_load_b32 s10, s[12:13], 0x0
	s_wait_dscnt 0x0
	v_add_f32_e32 v1, v1, v2
	s_delay_alu instid0(VALU_DEP_1) | instskip(NEXT) | instid1(VALU_DEP_1)
	v_div_scale_f32 v2, null, v1, v1, 1.0
	v_rcp_f32_e32 v4, v2
	v_nop
	s_delay_alu instid0(TRANS32_DEP_1) | instskip(SKIP_2) | instid1(VALU_DEP_1)
	v_fma_f32 v6, -v2, v4, 1.0
	s_cvt_f32_u32 s1, s7
	s_mov_b32 s7, exec_lo
	v_fmac_f32_e32 v4, v6, v4
	s_wait_kmcnt 0x0
	v_div_scale_f32 v3, null, s1, s1, s10
	v_div_scale_f32 v9, vcc_lo, 1.0, v1, 1.0
	v_div_scale_f32 v6, s0, s10, s1, s10
	s_delay_alu instid0(VALU_DEP_3)
	v_rcp_f32_e32 v5, v3
	v_nop
	v_xor_b32_e32 v3, 0x80000000, v3
	s_delay_alu instid0(TRANS32_DEP_1) | instid1(VALU_DEP_1)
	v_fma_f32 v7, v3, v5, 1.0
	s_delay_alu instid0(VALU_DEP_1) | instskip(NEXT) | instid1(VALU_DEP_1)
	v_dual_fmac_f32 v5, v7, v5 :: v_dual_mul_f32 v7, v9, v4
	v_fma_f32 v11, -v2, v7, v9
	s_delay_alu instid0(VALU_DEP_1) | instskip(NEXT) | instid1(VALU_DEP_1)
	v_dual_mul_f32 v10, v6, v5 :: v_dual_fmac_f32 v7, v11, v4
	v_dual_fma_f32 v12, v3, v10, v6 :: v_dual_fma_f32 v2, -v2, v7, v9
	s_delay_alu instid0(VALU_DEP_1) | instskip(NEXT) | instid1(VALU_DEP_2)
	v_fmac_f32_e32 v10, v12, v5
	v_div_fmas_f32 v2, v2, v4, v7
	s_delay_alu instid0(VALU_DEP_2) | instskip(SKIP_2) | instid1(VALU_DEP_2)
	v_fmac_f32_e32 v6, v3, v10
	s_mov_b32 vcc_lo, s0
	s_mov_b32 s0, -1
	v_div_fixup_f32 v2, v2, v1, 1.0
	s_delay_alu instid0(VALU_DEP_2) | instskip(NEXT) | instid1(VALU_DEP_1)
	v_div_fmas_f32 v3, v6, v5, v10
	v_div_fixup_f32 v4, v3, s1, s10
	v_cmpx_lt_u32_e32 31, v8
	s_cbranch_execz .LBB3_19
; %bb.16:
	v_dual_lshrrev_b32 v1, 5, v8 :: v_dual_mov_b32 v3, v2
	s_delay_alu instid0(VALU_DEP_3) | instskip(SKIP_1) | instid1(VALU_DEP_2)
	v_dual_mov_b32 v5, v4 :: v_dual_mov_b32 v7, 0
	s_lshl_b64 s[10:11], s[8:9], 2
	v_dual_add_nc_u32 v10, 1, v1 :: v_dual_add_nc_u32 v1, 32, v0
	s_add_nc_u64 s[0:1], s[2:3], s[10:11]
	s_add_nc_u64 s[10:11], s[4:5], s[10:11]
	s_mov_b32 s12, 0
	s_delay_alu instid0(VALU_DEP_1) | instskip(SKIP_1) | instid1(VALU_DEP_2)
	v_and_b32_e32 v11, 0xffffffe, v10
	v_mov_b64_e32 v[8:9], v[0:1]
	v_mov_b32_e32 v12, v11
.LBB3_17:                               ; =>This Inner Loop Header: Depth=1
	s_delay_alu instid0(VALU_DEP_1) | instskip(SKIP_1) | instid1(VALU_DEP_2)
	v_dual_mov_b32 v6, v8 :: v_dual_add_nc_u32 v12, -2, v12
	v_add_nc_u32_e32 v8, 64, v8
	v_lshlrev_b64_e32 v[14:15], 2, v[6:7]
	v_mov_b32_e32 v6, v9
	s_delay_alu instid0(VALU_DEP_4) | instskip(SKIP_1) | instid1(VALU_DEP_3)
	v_cmp_eq_u32_e32 vcc_lo, 0, v12
	v_add_nc_u32_e32 v9, 64, v9
	v_lshlrev_b64_e32 v[16:17], 2, v[6:7]
	v_add_nc_u64_e32 v[18:19], s[0:1], v[14:15]
	v_add_nc_u64_e32 v[14:15], s[10:11], v[14:15]
	s_or_b32 s12, vcc_lo, s12
	s_delay_alu instid0(VALU_DEP_3)
	v_add_nc_u64_e32 v[20:21], s[10:11], v[16:17]
	v_add_nc_u64_e32 v[16:17], s[0:1], v[16:17]
	global_load_b32 v22, v[18:19], off
	s_clause 0x1
	global_load_b32 v24, v[14:15], off
	global_load_b32 v25, v[20:21], off
	;; [unrolled: 1-line block ×3, first 2 shown]
	s_wait_loadcnt 0x0
	v_pk_fma_f32 v[16:17], v[2:3], v[24:25], v[22:23] neg_lo:[0,0,1] neg_hi:[0,0,1]
	s_delay_alu instid0(VALU_DEP_1)
	v_pk_mul_f32 v[16:17], v[4:5], v[16:17]
	s_clause 0x1
	global_store_b32 v[14:15], v16, off
	global_store_b32 v[20:21], v17, off
	s_wait_xcnt 0x0
	s_and_not1_b32 exec_lo, exec_lo, s12
	s_cbranch_execnz .LBB3_17
; %bb.18:
	s_or_b32 exec_lo, exec_lo, s12
	v_cmp_ne_u32_e32 vcc_lo, v10, v11
	v_lshl_add_u32 v0, v11, 5, v0
	s_or_not1_b32 s0, vcc_lo, exec_lo
.LBB3_19:
	s_or_b32 exec_lo, exec_lo, s7
	s_delay_alu instid0(SALU_CYCLE_1)
	s_and_b32 exec_lo, exec_lo, s0
	s_cbranch_execz .LBB3_22
; %bb.20:
	v_mov_b32_e32 v1, 0
	s_mov_b32 s0, 0
	s_delay_alu instid0(VALU_DEP_1) | instskip(NEXT) | instid1(VALU_DEP_1)
	v_lshlrev_b64_e32 v[6:7], 2, v[0:1]
	v_lshl_add_u64 v[8:9], s[8:9], 2, v[6:7]
	s_delay_alu instid0(VALU_DEP_1)
	v_add_nc_u64_e32 v[6:7], s[4:5], v[8:9]
	v_add_nc_u64_e32 v[8:9], s[2:3], v[8:9]
.LBB3_21:                               ; =>This Inner Loop Header: Depth=1
	global_load_b32 v1, v[6:7], off
	global_load_b32 v3, v[8:9], off
	s_wait_xcnt 0x0
	v_add_nc_u64_e32 v[8:9], 0x80, v[8:9]
	v_add_nc_u32_e32 v0, 32, v0
	s_delay_alu instid0(VALU_DEP_1) | instskip(SKIP_3) | instid1(VALU_DEP_1)
	v_cmp_le_i32_e32 vcc_lo, s6, v0
	s_or_b32 s0, vcc_lo, s0
	s_wait_loadcnt 0x0
	v_fma_f32 v1, v2, v1, -v3
	v_mul_f32_e32 v1, v4, v1
	global_store_b32 v[6:7], v1, off
	s_wait_xcnt 0x0
	v_add_nc_u64_e32 v[6:7], 0x80, v[6:7]
	s_and_not1_b32 exec_lo, exec_lo, s0
	s_cbranch_execnz .LBB3_21
.LBB3_22:
	s_endpgm
	.section	.rodata,"a",@progbits
	.p2align	6, 0x0
	.amdhsa_kernel _ZL27cross_entropy_loss_back_f32ILb0EEvPKfS1_S1_Pfi
		.amdhsa_group_segment_fixed_size 0
		.amdhsa_private_segment_fixed_size 0
		.amdhsa_kernarg_size 296
		.amdhsa_user_sgpr_count 2
		.amdhsa_user_sgpr_dispatch_ptr 0
		.amdhsa_user_sgpr_queue_ptr 0
		.amdhsa_user_sgpr_kernarg_segment_ptr 1
		.amdhsa_user_sgpr_dispatch_id 0
		.amdhsa_user_sgpr_kernarg_preload_length 0
		.amdhsa_user_sgpr_kernarg_preload_offset 0
		.amdhsa_user_sgpr_private_segment_size 0
		.amdhsa_wavefront_size32 1
		.amdhsa_uses_dynamic_stack 0
		.amdhsa_enable_private_segment 0
		.amdhsa_system_sgpr_workgroup_id_x 1
		.amdhsa_system_sgpr_workgroup_id_y 0
		.amdhsa_system_sgpr_workgroup_id_z 0
		.amdhsa_system_sgpr_workgroup_info 0
		.amdhsa_system_vgpr_workitem_id 0
		.amdhsa_next_free_vgpr 26
		.amdhsa_next_free_sgpr 17
		.amdhsa_named_barrier_count 0
		.amdhsa_reserve_vcc 1
		.amdhsa_float_round_mode_32 0
		.amdhsa_float_round_mode_16_64 0
		.amdhsa_float_denorm_mode_32 3
		.amdhsa_float_denorm_mode_16_64 3
		.amdhsa_fp16_overflow 0
		.amdhsa_memory_ordered 1
		.amdhsa_forward_progress 1
		.amdhsa_inst_pref_size 16
		.amdhsa_round_robin_scheduling 0
		.amdhsa_exception_fp_ieee_invalid_op 0
		.amdhsa_exception_fp_denorm_src 0
		.amdhsa_exception_fp_ieee_div_zero 0
		.amdhsa_exception_fp_ieee_overflow 0
		.amdhsa_exception_fp_ieee_underflow 0
		.amdhsa_exception_fp_ieee_inexact 0
		.amdhsa_exception_int_div_zero 0
	.end_amdhsa_kernel
	.section	.text._ZL27cross_entropy_loss_back_f32ILb0EEvPKfS1_S1_Pfi,"axG",@progbits,_ZL27cross_entropy_loss_back_f32ILb0EEvPKfS1_S1_Pfi,comdat
.Lfunc_end3:
	.size	_ZL27cross_entropy_loss_back_f32ILb0EEvPKfS1_S1_Pfi, .Lfunc_end3-_ZL27cross_entropy_loss_back_f32ILb0EEvPKfS1_S1_Pfi
                                        ; -- End function
	.set _ZL27cross_entropy_loss_back_f32ILb0EEvPKfS1_S1_Pfi.num_vgpr, 26
	.set _ZL27cross_entropy_loss_back_f32ILb0EEvPKfS1_S1_Pfi.num_agpr, 0
	.set _ZL27cross_entropy_loss_back_f32ILb0EEvPKfS1_S1_Pfi.numbered_sgpr, 17
	.set _ZL27cross_entropy_loss_back_f32ILb0EEvPKfS1_S1_Pfi.num_named_barrier, 0
	.set _ZL27cross_entropy_loss_back_f32ILb0EEvPKfS1_S1_Pfi.private_seg_size, 0
	.set _ZL27cross_entropy_loss_back_f32ILb0EEvPKfS1_S1_Pfi.uses_vcc, 1
	.set _ZL27cross_entropy_loss_back_f32ILb0EEvPKfS1_S1_Pfi.uses_flat_scratch, 0
	.set _ZL27cross_entropy_loss_back_f32ILb0EEvPKfS1_S1_Pfi.has_dyn_sized_stack, 0
	.set _ZL27cross_entropy_loss_back_f32ILb0EEvPKfS1_S1_Pfi.has_recursion, 0
	.set _ZL27cross_entropy_loss_back_f32ILb0EEvPKfS1_S1_Pfi.has_indirect_call, 0
	.section	.AMDGPU.csdata,"",@progbits
; Kernel info:
; codeLenInByte = 1988
; TotalNumSgprs: 19
; NumVgprs: 26
; ScratchSize: 0
; MemoryBound: 0
; FloatMode: 240
; IeeeMode: 1
; LDSByteSize: 0 bytes/workgroup (compile time only)
; SGPRBlocks: 0
; VGPRBlocks: 1
; NumSGPRsForWavesPerEU: 19
; NumVGPRsForWavesPerEU: 26
; NamedBarCnt: 0
; Occupancy: 16
; WaveLimiterHint : 0
; COMPUTE_PGM_RSRC2:SCRATCH_EN: 0
; COMPUTE_PGM_RSRC2:USER_SGPR: 2
; COMPUTE_PGM_RSRC2:TRAP_HANDLER: 0
; COMPUTE_PGM_RSRC2:TGID_X_EN: 1
; COMPUTE_PGM_RSRC2:TGID_Y_EN: 0
; COMPUTE_PGM_RSRC2:TGID_Z_EN: 0
; COMPUTE_PGM_RSRC2:TIDIG_COMP_CNT: 0
	.section	.AMDGPU.gpr_maximums,"",@progbits
	.set amdgpu.max_num_vgpr, 0
	.set amdgpu.max_num_agpr, 0
	.set amdgpu.max_num_sgpr, 0
	.section	.AMDGPU.csdata,"",@progbits
	.type	__hip_cuid_1f886cf44c310de5,@object ; @__hip_cuid_1f886cf44c310de5
	.section	.bss,"aw",@nobits
	.globl	__hip_cuid_1f886cf44c310de5
__hip_cuid_1f886cf44c310de5:
	.byte	0                               ; 0x0
	.size	__hip_cuid_1f886cf44c310de5, 1

	.ident	"AMD clang version 22.0.0git (https://github.com/RadeonOpenCompute/llvm-project roc-7.2.4 26084 f58b06dce1f9c15707c5f808fd002e18c2accf7e)"
	.section	".note.GNU-stack","",@progbits
	.addrsig
	.addrsig_sym __hip_cuid_1f886cf44c310de5
	.amdgpu_metadata
---
amdhsa.kernels:
  - .args:
      - .actual_access:  read_only
        .address_space:  global
        .offset:         0
        .size:           8
        .value_kind:     global_buffer
      - .actual_access:  read_only
        .address_space:  global
        .offset:         8
        .size:           8
        .value_kind:     global_buffer
      - .actual_access:  write_only
        .address_space:  global
        .offset:         16
        .size:           8
        .value_kind:     global_buffer
      - .offset:         24
        .size:           4
        .value_kind:     by_value
      - .offset:         28
        .size:           4
        .value_kind:     by_value
    .group_segment_fixed_size: 0
    .kernarg_segment_align: 8
    .kernarg_segment_size: 32
    .language:       OpenCL C
    .language_version:
      - 2
      - 0
    .max_flat_workgroup_size: 1024
    .name:           _ZL22cross_entropy_loss_f32ILb1EEvPKfS1_Pfii
    .private_segment_fixed_size: 0
    .sgpr_count:     18
    .sgpr_spill_count: 0
    .symbol:         _ZL22cross_entropy_loss_f32ILb1EEvPKfS1_Pfii.kd
    .uniform_work_group_size: 1
    .uses_dynamic_stack: false
    .vgpr_count:     15
    .vgpr_spill_count: 0
    .wavefront_size: 32
  - .args:
      - .actual_access:  read_only
        .address_space:  global
        .offset:         0
        .size:           8
        .value_kind:     global_buffer
      - .actual_access:  read_only
        .address_space:  global
        .offset:         8
        .size:           8
        .value_kind:     global_buffer
      - .actual_access:  write_only
        .address_space:  global
        .offset:         16
        .size:           8
        .value_kind:     global_buffer
      - .offset:         24
        .size:           4
        .value_kind:     by_value
      - .offset:         28
        .size:           4
        .value_kind:     by_value
    .group_segment_fixed_size: 0
    .kernarg_segment_align: 8
    .kernarg_segment_size: 32
    .language:       OpenCL C
    .language_version:
      - 2
      - 0
    .max_flat_workgroup_size: 1024
    .name:           _ZL22cross_entropy_loss_f32ILb0EEvPKfS1_Pfii
    .private_segment_fixed_size: 0
    .sgpr_count:     22
    .sgpr_spill_count: 0
    .symbol:         _ZL22cross_entropy_loss_f32ILb0EEvPKfS1_Pfii.kd
    .uniform_work_group_size: 1
    .uses_dynamic_stack: false
    .vgpr_count:     16
    .vgpr_spill_count: 0
    .wavefront_size: 32
  - .args:
      - .actual_access:  read_only
        .address_space:  global
        .offset:         0
        .size:           8
        .value_kind:     global_buffer
      - .actual_access:  read_only
        .address_space:  global
        .offset:         8
        .size:           8
        .value_kind:     global_buffer
      - .actual_access:  read_only
        .address_space:  global
        .offset:         16
        .size:           8
        .value_kind:     global_buffer
      - .actual_access:  write_only
        .address_space:  global
        .offset:         24
        .size:           8
        .value_kind:     global_buffer
      - .offset:         32
        .size:           4
        .value_kind:     by_value
      - .offset:         40
        .size:           4
        .value_kind:     hidden_block_count_x
      - .offset:         44
        .size:           4
        .value_kind:     hidden_block_count_y
      - .offset:         48
        .size:           4
        .value_kind:     hidden_block_count_z
      - .offset:         52
        .size:           2
        .value_kind:     hidden_group_size_x
      - .offset:         54
        .size:           2
        .value_kind:     hidden_group_size_y
      - .offset:         56
        .size:           2
        .value_kind:     hidden_group_size_z
      - .offset:         58
        .size:           2
        .value_kind:     hidden_remainder_x
      - .offset:         60
        .size:           2
        .value_kind:     hidden_remainder_y
      - .offset:         62
        .size:           2
        .value_kind:     hidden_remainder_z
      - .offset:         80
        .size:           8
        .value_kind:     hidden_global_offset_x
      - .offset:         88
        .size:           8
        .value_kind:     hidden_global_offset_y
      - .offset:         96
        .size:           8
        .value_kind:     hidden_global_offset_z
      - .offset:         104
        .size:           2
        .value_kind:     hidden_grid_dims
      - .offset:         160
        .size:           4
        .value_kind:     hidden_dynamic_lds_size
    .group_segment_fixed_size: 0
    .kernarg_segment_align: 8
    .kernarg_segment_size: 296
    .language:       OpenCL C
    .language_version:
      - 2
      - 0
    .max_flat_workgroup_size: 1024
    .name:           _ZL27cross_entropy_loss_back_f32ILb1EEvPKfS1_S1_Pfi
    .private_segment_fixed_size: 0
    .sgpr_count:     18
    .sgpr_spill_count: 0
    .symbol:         _ZL27cross_entropy_loss_back_f32ILb1EEvPKfS1_S1_Pfi.kd
    .uniform_work_group_size: 1
    .uses_dynamic_stack: false
    .vgpr_count:     48
    .vgpr_spill_count: 0
    .wavefront_size: 32
  - .args:
      - .actual_access:  read_only
        .address_space:  global
        .offset:         0
        .size:           8
        .value_kind:     global_buffer
      - .actual_access:  read_only
        .address_space:  global
        .offset:         8
        .size:           8
        .value_kind:     global_buffer
      - .actual_access:  read_only
        .address_space:  global
        .offset:         16
        .size:           8
        .value_kind:     global_buffer
      - .address_space:  global
        .offset:         24
        .size:           8
        .value_kind:     global_buffer
      - .offset:         32
        .size:           4
        .value_kind:     by_value
      - .offset:         40
        .size:           4
        .value_kind:     hidden_block_count_x
      - .offset:         44
        .size:           4
        .value_kind:     hidden_block_count_y
      - .offset:         48
        .size:           4
        .value_kind:     hidden_block_count_z
      - .offset:         52
        .size:           2
        .value_kind:     hidden_group_size_x
      - .offset:         54
        .size:           2
        .value_kind:     hidden_group_size_y
      - .offset:         56
        .size:           2
        .value_kind:     hidden_group_size_z
      - .offset:         58
        .size:           2
        .value_kind:     hidden_remainder_x
      - .offset:         60
        .size:           2
        .value_kind:     hidden_remainder_y
      - .offset:         62
        .size:           2
        .value_kind:     hidden_remainder_z
      - .offset:         80
        .size:           8
        .value_kind:     hidden_global_offset_x
      - .offset:         88
        .size:           8
        .value_kind:     hidden_global_offset_y
      - .offset:         96
        .size:           8
        .value_kind:     hidden_global_offset_z
      - .offset:         104
        .size:           2
        .value_kind:     hidden_grid_dims
    .group_segment_fixed_size: 0
    .kernarg_segment_align: 8
    .kernarg_segment_size: 296
    .language:       OpenCL C
    .language_version:
      - 2
      - 0
    .max_flat_workgroup_size: 1024
    .name:           _ZL27cross_entropy_loss_back_f32ILb0EEvPKfS1_S1_Pfi
    .private_segment_fixed_size: 0
    .sgpr_count:     19
    .sgpr_spill_count: 0
    .symbol:         _ZL27cross_entropy_loss_back_f32ILb0EEvPKfS1_S1_Pfi.kd
    .uniform_work_group_size: 1
    .uses_dynamic_stack: false
    .vgpr_count:     26
    .vgpr_spill_count: 0
    .wavefront_size: 32
amdhsa.target:   amdgcn-amd-amdhsa--gfx1250
amdhsa.version:
  - 1
  - 2
...

	.end_amdgpu_metadata
